;; amdgpu-corpus repo=ggml-org/llama.cpp kind=compiled arch=gfx1100 opt=O3
	.text
	.amdgcn_target "amdgcn-amd-amdhsa--gfx1100"
	.amdhsa_code_object_version 6
	.section	.text._ZL12ssm_conv_f32ILb1ELm128ELm3EEvPKfS1_S1_iiiiPfiiil,"axG",@progbits,_ZL12ssm_conv_f32ILb1ELm128ELm3EEvPKfS1_S1_iiiiPfiiil,comdat
	.globl	_ZL12ssm_conv_f32ILb1ELm128ELm3EEvPKfS1_S1_iiiiPfiiil ; -- Begin function _ZL12ssm_conv_f32ILb1ELm128ELm3EEvPKfS1_S1_iiiiPfiiil
	.p2align	8
	.type	_ZL12ssm_conv_f32ILb1ELm128ELm3EEvPKfS1_S1_iiiiPfiiil,@function
_ZL12ssm_conv_f32ILb1ELm128ELm3EEvPKfS1_S1_iiiiPfiiil: ; @_ZL12ssm_conv_f32ILb1ELm128ELm3EEvPKfS1_S1_iiiiPfiiil
; %bb.0:
	s_load_b64 s[4:5], s[0:1], 0x10
	s_mov_b32 s2, s15
	s_ashr_i32 s3, s15, 31
	v_lshlrev_b32_e32 v8, 2, v0
	s_lshl_b64 s[18:19], s[2:3], 7
	s_waitcnt lgkmcnt(0)
	s_cmp_eq_u64 s[4:5], 0
	s_cbranch_scc1 .LBB0_2
; %bb.1:
	s_lshl_b64 s[6:7], s[18:19], 2
	s_delay_alu instid0(SALU_CYCLE_1)
	s_add_u32 s4, s4, s6
	s_addc_u32 s5, s5, s7
	global_load_b32 v10, v8, s[4:5]
	s_load_b64 s[12:13], s[0:1], 0x40
	s_waitcnt lgkmcnt(0)
	v_cmp_lt_i64_e64 s4, s[12:13], 1
	s_delay_alu instid0(VALU_DEP_1)
	s_and_b32 vcc_lo, exec_lo, s4
	s_cbranch_vccz .LBB0_3
	s_branch .LBB0_6
.LBB0_2:
	v_mov_b32_e32 v10, 0
	s_load_b64 s[12:13], s[0:1], 0x40
	s_waitcnt lgkmcnt(0)
	v_cmp_lt_i64_e64 s4, s[12:13], 1
	s_delay_alu instid0(VALU_DEP_1)
	s_and_b32 vcc_lo, exec_lo, s4
	s_cbranch_vccnz .LBB0_6
.LBB0_3:
	s_clause 0x1
	s_load_b128 s[8:11], s[0:1], 0x1c
	s_load_b128 s[4:7], s[0:1], 0x30
	v_alignbit_b32 v1, s3, s2, 25
	s_clause 0x1
	s_load_b64 s[16:17], s[0:1], 0x28
	s_load_b128 s[0:3], s[0:1], 0x0
	s_waitcnt lgkmcnt(0)
	s_mul_i32 s7, s14, s9
	s_ashr_i32 s9, s8, 31
	s_ashr_i32 s15, s10, 31
	s_mul_hi_u32 s22, s18, s8
	s_mul_i32 s25, s18, s9
	s_mul_hi_u32 s20, s18, s10
	s_mul_i32 s23, s19, s8
	s_mul_i32 s6, s14, s6
	;; [unrolled: 1-line block ×3, first 2 shown]
	s_add_i32 s22, s22, s25
	s_ashr_i32 s21, s10, 2
	s_ashr_i32 s15, s7, 31
	;; [unrolled: 1-line block ×3, first 2 shown]
	s_add_i32 s25, s20, s14
	s_add_i32 s20, s22, s23
	s_add_u32 s22, s16, s6
	s_addc_u32 s23, s17, s9
	s_ashr_i32 s14, s4, 31
	s_mul_hi_u32 s24, s18, s4
	s_mul_i32 s26, s18, s14
	s_mul_i32 s19, s19, s4
	;; [unrolled: 1-line block ×3, first 2 shown]
	s_add_i32 s4, s24, s26
	v_mul_lo_u32 v3, v1, s10
	s_add_i32 s19, s4, s19
	s_add_u32 s22, s22, s14
	s_addc_u32 s23, s23, s19
	s_mul_i32 s11, s18, s8
	v_mul_lo_u32 v1, s21, v0
	s_add_u32 s4, s0, s7
	s_addc_u32 s21, s1, s15
	s_add_u32 s4, s4, s11
	s_addc_u32 s21, s21, s20
	s_ashr_i32 s8, s8, 2
	v_add_nc_u32_e32 v4, s25, v3
	v_mul_lo_u32 v0, s8, v0
	v_ashrrev_i32_e32 v2, 31, v1
	s_mul_i32 s8, s18, s10
	s_cmp_eq_u64 s[12:13], 1
	v_add_co_u32 v5, vcc_lo, s2, s8
	s_delay_alu instid0(VALU_DEP_2) | instskip(SKIP_2) | instid1(VALU_DEP_1)
	v_lshlrev_b64 v[2:3], 2, v[1:2]
	v_add_co_ci_u32_e32 v4, vcc_lo, s3, v4, vcc_lo
	v_ashrrev_i32_e32 v1, 31, v0
	v_lshlrev_b64 v[6:7], 2, v[0:1]
	s_delay_alu instid0(VALU_DEP_4) | instskip(NEXT) | instid1(VALU_DEP_4)
	v_add_co_u32 v0, vcc_lo, v5, v2
	v_add_co_ci_u32_e32 v1, vcc_lo, v4, v3, vcc_lo
	s_delay_alu instid0(VALU_DEP_3) | instskip(NEXT) | instid1(VALU_DEP_4)
	v_add_co_u32 v3, vcc_lo, s4, v6
	v_add_co_ci_u32_e32 v4, vcc_lo, s21, v7, vcc_lo
	global_load_b96 v[0:2], v[0:1], off
	global_load_b96 v[3:5], v[3:4], off
	s_waitcnt vmcnt(0)
	v_fma_f32 v9, v0, v3, 0
	s_delay_alu instid0(VALU_DEP_1) | instskip(NEXT) | instid1(VALU_DEP_1)
	v_fmac_f32_e32 v9, v1, v4
	v_fmac_f32_e32 v9, v2, v5
	s_delay_alu instid0(VALU_DEP_1) | instskip(NEXT) | instid1(VALU_DEP_1)
	v_add_f32_e32 v9, v10, v9
	v_mul_f32_e32 v11, 0xbfb8aa3b, v9
	v_cmp_nlt_f32_e32 vcc_lo, 0x42ce8ed0, v9
	s_delay_alu instid0(VALU_DEP_2) | instskip(SKIP_1) | instid1(VALU_DEP_2)
	v_fma_f32 v12, 0xbfb8aa3b, v9, -v11
	v_rndne_f32_e32 v13, v11
	v_fmac_f32_e32 v12, 0xb2a5705f, v9
	s_delay_alu instid0(VALU_DEP_2) | instskip(NEXT) | instid1(VALU_DEP_1)
	v_sub_f32_e32 v11, v11, v13
	v_add_f32_e32 v11, v11, v12
	v_cvt_i32_f32_e32 v12, v13
	s_delay_alu instid0(VALU_DEP_2) | instskip(SKIP_2) | instid1(VALU_DEP_1)
	v_exp_f32_e32 v11, v11
	s_waitcnt_depctr 0xfff
	v_ldexp_f32 v11, v11, v12
	v_cndmask_b32_e32 v11, 0, v11, vcc_lo
	v_cmp_ngt_f32_e32 vcc_lo, 0xc2b17218, v9
	s_delay_alu instid0(VALU_DEP_2) | instskip(NEXT) | instid1(VALU_DEP_1)
	v_cndmask_b32_e32 v11, 0x7f800000, v11, vcc_lo
	v_add_f32_e32 v11, 1.0, v11
	s_delay_alu instid0(VALU_DEP_1) | instskip(NEXT) | instid1(VALU_DEP_1)
	v_div_scale_f32 v12, null, v11, v11, v9
	v_rcp_f32_e32 v13, v12
	s_waitcnt_depctr 0xfff
	v_fma_f32 v14, -v12, v13, 1.0
	s_delay_alu instid0(VALU_DEP_1) | instskip(SKIP_1) | instid1(VALU_DEP_1)
	v_fmac_f32_e32 v13, v14, v13
	v_div_scale_f32 v14, vcc_lo, v9, v11, v9
	v_mul_f32_e32 v15, v14, v13
	s_delay_alu instid0(VALU_DEP_1) | instskip(NEXT) | instid1(VALU_DEP_1)
	v_fma_f32 v16, -v12, v15, v14
	v_fmac_f32_e32 v15, v16, v13
	s_delay_alu instid0(VALU_DEP_1) | instskip(NEXT) | instid1(VALU_DEP_1)
	v_fma_f32 v12, -v12, v15, v14
	v_div_fmas_f32 v12, v12, v13, v15
	s_delay_alu instid0(VALU_DEP_1)
	v_div_fixup_f32 v9, v12, v11, v9
	global_store_b32 v8, v9, s[22:23]
	s_cbranch_scc1 .LBB0_6
; %bb.4:
	s_ashr_i32 s4, s5, 2
	s_delay_alu instid0(SALU_CYCLE_1)
	s_ashr_i32 s5, s4, 31
	s_add_u32 s0, s0, s7
	s_addc_u32 s1, s1, s15
	s_add_u32 s0, s0, s11
	s_addc_u32 s1, s1, s20
	s_add_u32 s2, s12, -1
	s_addc_u32 s3, s13, -1
	s_lshl_b64 s[4:5], s[4:5], 2
	v_add_co_u32 v6, vcc_lo, s0, v6
	s_add_u32 s0, s14, s4
	v_add_co_ci_u32_e32 v7, vcc_lo, s1, v7, vcc_lo
	s_addc_u32 s1, s19, s5
	s_add_u32 s6, s16, s6
	s_addc_u32 s7, s17, s9
	s_add_u32 s0, s6, s0
	v_add_co_u32 v6, vcc_lo, v6, 12
	s_addc_u32 s1, s7, s1
	v_add_co_u32 v8, s0, s0, v8
	v_add_co_ci_u32_e32 v7, vcc_lo, 0, v7, vcc_lo
	v_add_co_ci_u32_e64 v9, null, s1, 0, s0
	s_mov_b64 s[6:7], 1
	s_mov_b64 s[8:9], 3
	;; [unrolled: 1-line block ×4, first 2 shown]
.LBB0_5:                                ; =>This Inner Loop Header: Depth=1
	global_load_b32 v11, v[6:7], off
	s_add_u32 s0, 0, 0x55500000
	s_addc_u32 s1, 0, 0x155
	s_mul_hi_u32 s15, s0, -3
	s_add_i32 s1, s1, 0x55555400
	s_sub_i32 s15, s15, s0
	s_mul_i32 s18, s1, -3
	s_mul_i32 s14, s0, -3
	s_add_i32 s15, s15, s18
	s_mul_hi_u32 s16, s0, s14
	s_mul_i32 s19, s0, s15
	s_mul_hi_u32 s18, s0, s15
	s_mul_hi_u32 s17, s1, s14
	s_mul_i32 s14, s1, s14
	s_add_u32 s16, s16, s19
	s_addc_u32 s18, 0, s18
	s_mul_hi_u32 s20, s1, s15
	s_add_u32 s14, s16, s14
	s_mul_i32 s15, s1, s15
	s_addc_u32 s14, s18, s17
	s_addc_u32 s16, s20, 0
	s_add_u32 s14, s14, s15
	s_addc_u32 s15, 0, s16
	v_add_co_u32 v12, s0, s0, s14
	s_delay_alu instid0(VALU_DEP_1) | instskip(SKIP_2) | instid1(VALU_DEP_2)
	s_cmp_lg_u32 s0, 0
	v_add_co_u32 v6, vcc_lo, v6, 4
	s_addc_u32 s0, s1, s15
	v_readfirstlane_b32 s1, v12
	s_mul_i32 s15, s6, s0
	s_mul_hi_u32 s14, s6, s0
	s_mul_hi_u32 s16, s7, s0
	s_mul_i32 s17, s7, s0
	s_mul_hi_u32 s29, s6, s1
	s_mul_i32 s31, s7, s1
	s_add_u32 s15, s29, s15
	s_mul_hi_u32 s30, s7, s1
	s_addc_u32 s14, 0, s14
	s_add_u32 s15, s15, s31
	s_addc_u32 s14, s14, s30
	s_addc_u32 s15, s16, 0
	s_add_u32 s14, s14, s17
	s_addc_u32 s15, 0, s15
	s_mul_hi_u32 s16, s14, 3
	s_mul_i32 s14, s14, 3
	s_mul_i32 s15, s15, 3
	v_sub_co_u32 v12, s14, s6, s14
	v_add_co_ci_u32_e32 v7, vcc_lo, 0, v7, vcc_lo
	s_add_i32 s16, s16, s15
	s_delay_alu instid0(VALU_DEP_2)
	v_sub_co_u32 v13, s15, v12, 3
	v_cmp_lt_u32_e32 vcc_lo, 2, v12
	s_cmp_lg_u32 s14, 0
	s_mul_i32 s19, s8, s0
	s_subb_u32 s14, s7, s16
	s_cmp_lg_u32 s15, 0
	v_cndmask_b32_e64 v14, 0, -1, vcc_lo
	v_cmp_lt_u32_e32 vcc_lo, 2, v13
	s_subb_u32 s15, s14, 0
	s_mul_hi_u32 s33, s8, s1
	s_cmp_eq_u32 s15, 0
	s_mul_hi_u32 s18, s8, s0
	v_cndmask_b32_e64 v15, 0, -1, vcc_lo
	s_cselect_b32 vcc_lo, -1, 0
	s_cmp_eq_u32 s14, 0
	v_add_nc_u32_e32 v16, -3, v13
	s_mul_i32 s35, s9, s1
	v_cndmask_b32_e32 v15, -1, v15, vcc_lo
	s_cselect_b32 vcc_lo, -1, 0
	s_add_u32 s14, s33, s19
	s_mul_hi_u32 s34, s9, s1
	s_addc_u32 s15, 0, s18
	s_mul_hi_u32 s20, s9, s0
	s_add_u32 s14, s14, s35
	s_mul_i32 s21, s9, s0
	s_addc_u32 s14, s15, s34
	v_cndmask_b32_e32 v14, -1, v14, vcc_lo
	s_addc_u32 s15, s20, 0
	v_cmp_ne_u32_e32 vcc_lo, 0, v15
	s_add_u32 s14, s14, s21
	s_addc_u32 s15, 0, s15
	s_mul_hi_u32 s16, s14, 3
	s_mul_i32 s14, s14, 3
	v_cndmask_b32_e32 v13, v13, v16, vcc_lo
	v_cmp_ne_u32_e32 vcc_lo, 0, v14
	v_sub_co_u32 v14, s14, s8, s14
	s_mul_i32 s15, s15, 3
	s_mul_i32 s23, s10, s0
	v_cndmask_b32_e32 v12, v12, v13, vcc_lo
	s_add_i32 s16, s16, s15
	v_sub_co_u32 v13, s15, v14, 3
	v_cmp_lt_u32_e32 vcc_lo, 2, v14
	s_cmp_lg_u32 s14, 0
	s_mul_hi_u32 s36, s10, s1
	s_subb_u32 s14, s9, s16
	s_cmp_lg_u32 s15, 0
	v_cndmask_b32_e64 v15, 0, -1, vcc_lo
	v_cmp_lt_u32_e32 vcc_lo, 2, v13
	s_subb_u32 s15, s14, 0
	s_mul_hi_u32 s22, s10, s0
	s_cmp_eq_u32 s15, 0
	s_mul_i32 s38, s11, s1
	v_cndmask_b32_e64 v16, 0, -1, vcc_lo
	s_cselect_b32 vcc_lo, -1, 0
	s_cmp_eq_u32 s14, 0
	v_add_nc_u32_e32 v17, -3, v13
	s_mul_hi_u32 s37, s11, s1
	v_cndmask_b32_e32 v16, -1, v16, vcc_lo
	s_cselect_b32 vcc_lo, -1, 0
	s_add_u32 s14, s36, s23
	s_addc_u32 s15, 0, s22
	s_mul_hi_u32 s24, s11, s0
	s_add_u32 s14, s14, s38
	s_mul_i32 s25, s11, s0
	s_addc_u32 s14, s15, s37
	v_cndmask_b32_e32 v15, -1, v15, vcc_lo
	s_addc_u32 s15, s24, 0
	v_cmp_ne_u32_e32 vcc_lo, 0, v16
	s_add_u32 s14, s14, s25
	s_addc_u32 s15, 0, s15
	s_mul_hi_u32 s16, s14, 3
	s_mul_i32 s14, s14, 3
	v_cndmask_b32_e32 v13, v13, v17, vcc_lo
	v_cmp_ne_u32_e32 vcc_lo, 0, v15
	v_sub_co_u32 v15, s14, s10, s14
	s_mul_i32 s15, s15, 3
	s_mul_i32 s27, s12, s0
	v_cndmask_b32_e32 v13, v14, v13, vcc_lo
	s_add_i32 s16, s16, s15
	v_sub_co_u32 v14, s15, v15, 3
	v_cmp_lt_u32_e32 vcc_lo, 2, v15
	s_cmp_lg_u32 s14, 0
	s_mul_hi_u32 s39, s12, s1
	s_subb_u32 s14, s11, s16
	s_cmp_lg_u32 s15, 0
	v_cndmask_b32_e64 v16, 0, -1, vcc_lo
	v_cmp_lt_u32_e32 vcc_lo, 2, v14
	s_subb_u32 s15, s14, 0
	s_mul_hi_u32 s26, s12, s0
	s_cmp_eq_u32 s15, 0
	v_add_nc_u32_e32 v18, -3, v14
	v_cndmask_b32_e64 v17, 0, -1, vcc_lo
	s_cselect_b32 vcc_lo, -1, 0
	s_cmp_eq_u32 s14, 0
	s_mul_hi_u32 s40, s13, s1
	s_mul_i32 s1, s13, s1
	v_cndmask_b32_e32 v17, -1, v17, vcc_lo
	s_cselect_b32 vcc_lo, -1, 0
	s_add_u32 s14, s39, s27
	s_addc_u32 s15, 0, s26
	s_mul_hi_u32 s28, s13, s0
	s_add_u32 s1, s14, s1
	s_mul_i32 s0, s13, s0
	s_addc_u32 s1, s15, s40
	v_cndmask_b32_e32 v16, -1, v16, vcc_lo
	s_addc_u32 s14, s28, 0
	v_cmp_ne_u32_e32 vcc_lo, 0, v17
	s_add_u32 s0, s1, s0
	s_addc_u32 s1, 0, s14
	s_mul_hi_u32 s14, s0, 3
	s_mul_i32 s0, s0, 3
	v_cndmask_b32_e32 v14, v14, v18, vcc_lo
	v_cmp_ne_u32_e32 vcc_lo, 0, v16
	v_sub_co_u32 v16, s0, s12, s0
	s_mul_i32 s1, s1, 3
	s_delay_alu instid0(VALU_DEP_3) | instskip(SKIP_1) | instid1(VALU_DEP_2)
	v_cndmask_b32_e32 v14, v15, v14, vcc_lo
	s_add_i32 s14, s14, s1
	v_sub_co_u32 v15, s1, v16, 3
	v_cmp_lt_u32_e32 vcc_lo, 2, v16
	s_cmp_lg_u32 s0, 0
	s_delay_alu instid0(VALU_DEP_2)
	v_add_nc_u32_e32 v19, -3, v15
	s_subb_u32 s0, s13, s14
	v_cndmask_b32_e64 v17, 0, -1, vcc_lo
	v_cmp_lt_u32_e32 vcc_lo, 2, v15
	s_cmp_lg_u32 s1, 0
	s_subb_u32 s1, s0, 0
	v_cndmask_b32_e64 v18, 0, -1, vcc_lo
	s_cmp_eq_u32 s1, 0
	s_cselect_b32 vcc_lo, -1, 0
	s_cmp_eq_u32 s0, 0
	s_delay_alu instid0(VALU_DEP_1)
	v_cndmask_b32_e32 v18, -1, v18, vcc_lo
	s_cselect_b32 vcc_lo, -1, 0
	s_add_u32 s6, s6, 1
	v_cndmask_b32_e32 v17, -1, v17, vcc_lo
	s_addc_u32 s7, s7, 0
	v_cmp_ne_u32_e32 vcc_lo, 0, v18
	s_add_u32 s8, s8, 1
	s_addc_u32 s9, s9, 0
	s_add_u32 s2, s2, -1
	s_addc_u32 s3, s3, -1
	v_cndmask_b32_e32 v15, v15, v19, vcc_lo
	v_cmp_ne_u32_e32 vcc_lo, 0, v17
	s_add_u32 s10, s10, 1
	s_addc_u32 s11, s11, 0
	s_add_u32 s12, s12, 1
	s_addc_u32 s13, s13, 0
	v_cndmask_b32_e32 v15, v16, v15, vcc_lo
	s_cmp_eq_u64 s[2:3], 0
	s_delay_alu instid0(VALU_DEP_1) | instskip(SKIP_3) | instid1(VALU_DEP_2)
	v_cmp_eq_u32_e64 s0, 0, v15
	v_cmp_eq_u32_e64 s1, 1, v15
	v_cmp_eq_u32_e32 vcc_lo, 2, v15
	s_waitcnt vmcnt(0)
	v_cndmask_b32_e64 v4, v4, v11, s1
	v_cndmask_b32_e64 v3, v3, v11, s0
	v_cmp_eq_u32_e64 s1, 1, v12
	v_cndmask_b32_e32 v5, v5, v11, vcc_lo
	v_cmp_eq_u32_e32 vcc_lo, 1, v14
	v_cmp_eq_u32_e64 s0, 1, v13
	s_delay_alu instid0(VALU_DEP_4)
	v_cndmask_b32_e64 v11, v3, v4, s1
	v_cmp_eq_u32_e64 s1, 2, v12
	v_cndmask_b32_e32 v15, v3, v4, vcc_lo
	v_cmp_eq_u32_e32 vcc_lo, 2, v14
	v_cndmask_b32_e64 v14, v3, v4, s0
	v_cmp_eq_u32_e64 s0, 2, v13
	v_cndmask_b32_e64 v11, v11, v5, s1
	v_cndmask_b32_e32 v12, v15, v5, vcc_lo
	s_delay_alu instid0(VALU_DEP_3) | instskip(NEXT) | instid1(VALU_DEP_3)
	v_cndmask_b32_e64 v13, v14, v5, s0
	v_fma_f32 v11, v0, v11, 0
	s_delay_alu instid0(VALU_DEP_1) | instskip(NEXT) | instid1(VALU_DEP_1)
	v_fmac_f32_e32 v11, v1, v12
	v_fmac_f32_e32 v11, v2, v13
	s_delay_alu instid0(VALU_DEP_1) | instskip(NEXT) | instid1(VALU_DEP_1)
	v_add_f32_e32 v11, v10, v11
	v_mul_f32_e32 v12, 0xbfb8aa3b, v11
	v_cmp_nlt_f32_e32 vcc_lo, 0x42ce8ed0, v11
	s_delay_alu instid0(VALU_DEP_2) | instskip(SKIP_1) | instid1(VALU_DEP_1)
	v_fma_f32 v13, 0xbfb8aa3b, v11, -v12
	v_rndne_f32_e32 v14, v12
	v_dual_fmac_f32 v13, 0xb2a5705f, v11 :: v_dual_sub_f32 v12, v12, v14
	s_delay_alu instid0(VALU_DEP_1) | instskip(SKIP_1) | instid1(VALU_DEP_2)
	v_add_f32_e32 v12, v12, v13
	v_cvt_i32_f32_e32 v13, v14
	v_exp_f32_e32 v12, v12
	s_waitcnt_depctr 0xfff
	v_ldexp_f32 v12, v12, v13
	s_delay_alu instid0(VALU_DEP_1) | instskip(SKIP_1) | instid1(VALU_DEP_2)
	v_cndmask_b32_e32 v12, 0, v12, vcc_lo
	v_cmp_ngt_f32_e32 vcc_lo, 0xc2b17218, v11
	v_cndmask_b32_e32 v12, 0x7f800000, v12, vcc_lo
	s_delay_alu instid0(VALU_DEP_1) | instskip(NEXT) | instid1(VALU_DEP_1)
	v_add_f32_e32 v12, 1.0, v12
	v_div_scale_f32 v13, null, v12, v12, v11
	v_div_scale_f32 v15, vcc_lo, v11, v12, v11
	s_delay_alu instid0(VALU_DEP_2) | instskip(SKIP_2) | instid1(VALU_DEP_1)
	v_rcp_f32_e32 v14, v13
	s_waitcnt_depctr 0xfff
	v_fma_f32 v16, -v13, v14, 1.0
	v_fmac_f32_e32 v14, v16, v14
	s_delay_alu instid0(VALU_DEP_1) | instskip(NEXT) | instid1(VALU_DEP_1)
	v_mul_f32_e32 v16, v15, v14
	v_fma_f32 v17, -v13, v16, v15
	s_delay_alu instid0(VALU_DEP_1) | instskip(NEXT) | instid1(VALU_DEP_1)
	v_fmac_f32_e32 v16, v17, v14
	v_fma_f32 v13, -v13, v16, v15
	s_delay_alu instid0(VALU_DEP_1) | instskip(NEXT) | instid1(VALU_DEP_1)
	v_div_fmas_f32 v13, v13, v14, v16
	v_div_fixup_f32 v11, v13, v12, v11
	global_store_b32 v[8:9], v11, off
	v_add_co_u32 v8, vcc_lo, v8, s4
	v_add_co_ci_u32_e32 v9, vcc_lo, s5, v9, vcc_lo
	s_cbranch_scc0 .LBB0_5
.LBB0_6:
	s_nop 0
	s_sendmsg sendmsg(MSG_DEALLOC_VGPRS)
	s_endpgm
	.section	.rodata,"a",@progbits
	.p2align	6, 0x0
	.amdhsa_kernel _ZL12ssm_conv_f32ILb1ELm128ELm3EEvPKfS1_S1_iiiiPfiiil
		.amdhsa_group_segment_fixed_size 0
		.amdhsa_private_segment_fixed_size 0
		.amdhsa_kernarg_size 72
		.amdhsa_user_sgpr_count 14
		.amdhsa_user_sgpr_dispatch_ptr 0
		.amdhsa_user_sgpr_queue_ptr 0
		.amdhsa_user_sgpr_kernarg_segment_ptr 1
		.amdhsa_user_sgpr_dispatch_id 0
		.amdhsa_user_sgpr_private_segment_size 0
		.amdhsa_wavefront_size32 1
		.amdhsa_uses_dynamic_stack 0
		.amdhsa_enable_private_segment 0
		.amdhsa_system_sgpr_workgroup_id_x 1
		.amdhsa_system_sgpr_workgroup_id_y 1
		.amdhsa_system_sgpr_workgroup_id_z 0
		.amdhsa_system_sgpr_workgroup_info 0
		.amdhsa_system_vgpr_workitem_id 0
		.amdhsa_next_free_vgpr 20
		.amdhsa_next_free_sgpr 41
		.amdhsa_reserve_vcc 1
		.amdhsa_float_round_mode_32 0
		.amdhsa_float_round_mode_16_64 0
		.amdhsa_float_denorm_mode_32 3
		.amdhsa_float_denorm_mode_16_64 3
		.amdhsa_dx10_clamp 1
		.amdhsa_ieee_mode 1
		.amdhsa_fp16_overflow 0
		.amdhsa_workgroup_processor_mode 1
		.amdhsa_memory_ordered 1
		.amdhsa_forward_progress 0
		.amdhsa_shared_vgpr_count 0
		.amdhsa_exception_fp_ieee_invalid_op 0
		.amdhsa_exception_fp_denorm_src 0
		.amdhsa_exception_fp_ieee_div_zero 0
		.amdhsa_exception_fp_ieee_overflow 0
		.amdhsa_exception_fp_ieee_underflow 0
		.amdhsa_exception_fp_ieee_inexact 0
		.amdhsa_exception_int_div_zero 0
	.end_amdhsa_kernel
	.section	.text._ZL12ssm_conv_f32ILb1ELm128ELm3EEvPKfS1_S1_iiiiPfiiil,"axG",@progbits,_ZL12ssm_conv_f32ILb1ELm128ELm3EEvPKfS1_S1_iiiiPfiiil,comdat
.Lfunc_end0:
	.size	_ZL12ssm_conv_f32ILb1ELm128ELm3EEvPKfS1_S1_iiiiPfiiil, .Lfunc_end0-_ZL12ssm_conv_f32ILb1ELm128ELm3EEvPKfS1_S1_iiiiPfiiil
                                        ; -- End function
	.section	.AMDGPU.csdata,"",@progbits
; Kernel info:
; codeLenInByte = 2096
; NumSgprs: 43
; NumVgprs: 20
; ScratchSize: 0
; MemoryBound: 0
; FloatMode: 240
; IeeeMode: 1
; LDSByteSize: 0 bytes/workgroup (compile time only)
; SGPRBlocks: 5
; VGPRBlocks: 2
; NumSGPRsForWavesPerEU: 43
; NumVGPRsForWavesPerEU: 20
; Occupancy: 16
; WaveLimiterHint : 0
; COMPUTE_PGM_RSRC2:SCRATCH_EN: 0
; COMPUTE_PGM_RSRC2:USER_SGPR: 14
; COMPUTE_PGM_RSRC2:TRAP_HANDLER: 0
; COMPUTE_PGM_RSRC2:TGID_X_EN: 1
; COMPUTE_PGM_RSRC2:TGID_Y_EN: 1
; COMPUTE_PGM_RSRC2:TGID_Z_EN: 0
; COMPUTE_PGM_RSRC2:TIDIG_COMP_CNT: 0
	.section	.text._ZL23ssm_conv_long_token_f32ILb1ELm128ELm3ELl32EEvPKfS1_S1_iiiiPfiiil,"axG",@progbits,_ZL23ssm_conv_long_token_f32ILb1ELm128ELm3ELl32EEvPKfS1_S1_iiiiPfiiil,comdat
	.globl	_ZL23ssm_conv_long_token_f32ILb1ELm128ELm3ELl32EEvPKfS1_S1_iiiiPfiiil ; -- Begin function _ZL23ssm_conv_long_token_f32ILb1ELm128ELm3ELl32EEvPKfS1_S1_iiiiPfiiil
	.p2align	8
	.type	_ZL23ssm_conv_long_token_f32ILb1ELm128ELm3ELl32EEvPKfS1_S1_iiiiPfiiil,@function
_ZL23ssm_conv_long_token_f32ILb1ELm128ELm3ELl32EEvPKfS1_S1_iiiiPfiiil: ; @_ZL23ssm_conv_long_token_f32ILb1ELm128ELm3ELl32EEvPKfS1_S1_iiiiPfiiil
; %bb.0:
	v_mul_u32_u24_e32 v1, 0x788, v0
	s_clause 0x1
	s_load_b128 s[4:7], s[0:1], 0x18
	s_load_b64 s[2:3], s[0:1], 0x0
	s_mov_b32 s8, s15
	v_lshrrev_b32_e32 v14, 16, v1
	s_delay_alu instid0(VALU_DEP_1) | instskip(NEXT) | instid1(VALU_DEP_1)
	v_mul_lo_u16 v1, v14, 34
	v_sub_nc_u16 v12, v0, v1
	s_delay_alu instid0(VALU_DEP_1) | instskip(SKIP_2) | instid1(SALU_CYCLE_1)
	v_or_b32_e32 v1, 0x80, v12
	s_waitcnt lgkmcnt(0)
	s_mul_i32 s6, s13, s6
	s_ashr_i32 s9, s6, 31
	s_add_u32 s10, s2, s6
	v_mul_lo_u16 v2, 0xf1, v1
	s_addc_u32 s11, s3, s9
	s_ashr_i32 s6, s5, 2
	s_ashr_i32 s15, s14, 31
	;; [unrolled: 1-line block ×3, first 2 shown]
	v_lshrrev_b16 v17, 13, v2
	v_alignbit_b32 v18, s15, s14, 25
	s_ashr_i32 s9, s8, 31
	s_lshl_b64 s[2:3], s[14:15], 7
	s_lshl_b64 s[14:15], s[8:9], 5
	v_mul_lo_u16 v2, v17, 34
	v_mul_lo_u32 v18, v18, s5
	v_alignbit_b32 v20, s9, s8, 27
	s_mul_i32 s8, s2, s12
	s_mul_hi_u32 s9, s2, s5
	v_sub_nc_u16 v1, v1, v2
	s_add_i32 s9, s9, s8
	v_and_b32_e32 v22, 0xffff, v17
	v_mul_lo_u32 v20, v20, s4
	v_add_nc_u32_e32 v23, s9, v18
	v_and_b32_e32 v1, 0xff, v1
	s_ashr_i32 s16, s4, 31
	v_add_nc_u32_e32 v44, v14, v22
	s_mul_i32 s12, s2, s5
	s_mul_i32 s16, s14, s16
	v_or_b32_e32 v2, 0x80, v1
	s_mul_hi_u32 s17, s14, s4
	v_add_co_u32 v22, vcc_lo, s10, s12
	s_add_i32 s17, s17, s16
	s_delay_alu instid0(VALU_DEP_2) | instskip(SKIP_3) | instid1(VALU_DEP_3)
	v_mul_lo_u16 v3, 0xf1, v2
	v_add_nc_u32_e32 v28, s17, v20
	v_add_co_ci_u32_e32 v23, vcc_lo, s11, v23, vcc_lo
	s_mul_i32 s5, s14, s4
	v_lshrrev_b16 v19, 13, v3
	s_mov_b32 s4, exec_lo
	s_delay_alu instid0(VALU_DEP_1) | instskip(NEXT) | instid1(VALU_DEP_1)
	v_mul_lo_u16 v3, v19, 34
	v_sub_nc_u16 v2, v2, v3
	s_delay_alu instid0(VALU_DEP_1) | instskip(NEXT) | instid1(VALU_DEP_1)
	v_and_b32_e32 v2, 0xff, v2
	v_or_b32_e32 v3, 0x80, v2
	s_delay_alu instid0(VALU_DEP_1) | instskip(NEXT) | instid1(VALU_DEP_1)
	v_mul_lo_u16 v4, 0xf1, v3
	v_lshrrev_b16 v24, 13, v4
	s_delay_alu instid0(VALU_DEP_1) | instskip(NEXT) | instid1(VALU_DEP_1)
	v_mul_lo_u16 v4, v24, 34
	v_sub_nc_u16 v3, v3, v4
	s_delay_alu instid0(VALU_DEP_1) | instskip(NEXT) | instid1(VALU_DEP_1)
	v_and_b32_e32 v3, 0xff, v3
	v_or_b32_e32 v4, 0x80, v3
	s_delay_alu instid0(VALU_DEP_1) | instskip(NEXT) | instid1(VALU_DEP_1)
	v_mul_lo_u16 v5, 0xf1, v4
	v_lshrrev_b16 v25, 13, v5
	;; [unrolled: 9-line block ×3, first 2 shown]
	s_delay_alu instid0(VALU_DEP_1) | instskip(SKIP_1) | instid1(VALU_DEP_2)
	v_mul_lo_u16 v6, v26, 34
	v_and_b32_e32 v26, 0xffff, v26
	v_sub_nc_u16 v5, v5, v6
	s_delay_alu instid0(VALU_DEP_1) | instskip(NEXT) | instid1(VALU_DEP_1)
	v_and_b32_e32 v5, 0xff, v5
	v_or_b32_e32 v6, 0x80, v5
	s_delay_alu instid0(VALU_DEP_1) | instskip(NEXT) | instid1(VALU_DEP_1)
	v_mul_lo_u16 v7, 0xf1, v6
	v_lshrrev_b16 v31, 13, v7
	s_delay_alu instid0(VALU_DEP_1) | instskip(NEXT) | instid1(VALU_DEP_1)
	v_mul_lo_u16 v7, v31, 34
	v_sub_nc_u16 v6, v6, v7
	s_delay_alu instid0(VALU_DEP_1) | instskip(NEXT) | instid1(VALU_DEP_1)
	v_and_b32_e32 v6, 0xff, v6
	v_or_b32_e32 v7, 0x80, v6
	s_delay_alu instid0(VALU_DEP_1) | instskip(NEXT) | instid1(VALU_DEP_1)
	v_mul_lo_u16 v8, 0xf1, v7
	v_lshrrev_b16 v33, 13, v8
	s_delay_alu instid0(VALU_DEP_1) | instskip(NEXT) | instid1(VALU_DEP_1)
	v_mul_lo_u16 v8, v33, 34
	v_sub_nc_u16 v7, v7, v8
	s_delay_alu instid0(VALU_DEP_1) | instskip(NEXT) | instid1(VALU_DEP_1)
	v_and_b32_e32 v7, 0xff, v7
	v_or_b32_e32 v8, 0x80, v7
	s_delay_alu instid0(VALU_DEP_1) | instskip(NEXT) | instid1(VALU_DEP_1)
	v_mul_lo_u16 v9, 0xf1, v8
	v_lshrrev_b16 v36, 13, v9
	s_delay_alu instid0(VALU_DEP_1) | instskip(SKIP_1) | instid1(VALU_DEP_2)
	v_mul_lo_u16 v9, v36, 34
	v_and_b32_e32 v36, 0xffff, v36
	v_sub_nc_u16 v8, v8, v9
	s_delay_alu instid0(VALU_DEP_1) | instskip(NEXT) | instid1(VALU_DEP_1)
	v_and_b32_e32 v8, 0xff, v8
	v_or_b32_e32 v9, 0x80, v8
	s_delay_alu instid0(VALU_DEP_1) | instskip(NEXT) | instid1(VALU_DEP_1)
	v_mul_lo_u16 v10, 0xf1, v9
	v_lshrrev_b16 v37, 13, v10
	s_delay_alu instid0(VALU_DEP_1) | instskip(NEXT) | instid1(VALU_DEP_1)
	v_mul_lo_u16 v10, v37, 34
	v_sub_nc_u16 v9, v9, v10
	s_delay_alu instid0(VALU_DEP_1) | instskip(NEXT) | instid1(VALU_DEP_1)
	v_and_b32_e32 v9, 0xff, v9
	v_or_b32_e32 v10, 0x80, v9
	s_delay_alu instid0(VALU_DEP_1) | instskip(NEXT) | instid1(VALU_DEP_1)
	v_mul_lo_u16 v11, 0xf1, v10
	v_lshrrev_b16 v40, 13, v11
	s_delay_alu instid0(VALU_DEP_1) | instskip(NEXT) | instid1(VALU_DEP_1)
	v_mul_lo_u16 v11, v40, 34
	;; [unrolled: 9-line block ×3, first 2 shown]
	v_sub_nc_u16 v11, v11, v13
	s_delay_alu instid0(VALU_DEP_1) | instskip(NEXT) | instid1(VALU_DEP_1)
	v_and_b32_e32 v11, 0xff, v11
	v_or_b32_e32 v13, 0x80, v11
	s_delay_alu instid0(VALU_DEP_1) | instskip(NEXT) | instid1(VALU_DEP_1)
	v_mul_lo_u16 v15, 0xf1, v13
	v_lshrrev_b16 v42, 13, v15
	v_and_b32_e32 v15, 0xffff, v12
	s_delay_alu instid0(VALU_DEP_2) | instskip(NEXT) | instid1(VALU_DEP_1)
	v_mul_lo_u16 v12, v42, 34
	v_sub_nc_u16 v12, v13, v12
	s_delay_alu instid0(VALU_DEP_1) | instskip(NEXT) | instid1(VALU_DEP_1)
	v_and_b32_e32 v16, 0xff, v12
	v_or_b32_e32 v21, 0x80, v16
	v_mad_u64_u32 v[12:13], null, s6, v14, v[15:16]
	v_mad_u32_u24 v14, v14, 34, v15
	s_delay_alu instid0(VALU_DEP_3) | instskip(NEXT) | instid1(VALU_DEP_2)
	v_mul_lo_u16 v13, 0xf1, v21
	v_lshl_add_u32 v14, v14, 2, 0
	s_delay_alu instid0(VALU_DEP_2) | instskip(SKIP_1) | instid1(VALU_DEP_2)
	v_lshrrev_b16 v43, 13, v13
	v_ashrrev_i32_e32 v13, 31, v12
	v_mul_lo_u16 v27, v43, 34
	s_delay_alu instid0(VALU_DEP_2) | instskip(SKIP_2) | instid1(VALU_DEP_4)
	v_lshlrev_b64 v[17:18], 2, v[12:13]
	v_and_b32_e32 v12, 0xffff, v19
	v_mad_u64_u32 v[19:20], null, v44, s6, v[1:2]
	v_sub_nc_u16 v13, v21, v27
	v_mad_u32_u24 v1, v44, 34, v1
	s_delay_alu instid0(VALU_DEP_4) | instskip(SKIP_1) | instid1(VALU_DEP_4)
	v_add_nc_u32_e32 v45, v44, v12
	v_add_co_u32 v12, vcc_lo, v22, s5
	v_and_b32_e32 v21, 0xff, v13
	v_add_co_ci_u32_e32 v13, vcc_lo, v23, v28, vcc_lo
	s_delay_alu instid0(VALU_DEP_4) | instskip(NEXT) | instid1(VALU_DEP_3)
	v_mad_u64_u32 v[22:23], null, v45, s6, v[2:3]
	v_or_b32_e32 v27, 0x80, v21
	v_and_b32_e32 v23, 0xffff, v24
	v_and_b32_e32 v28, 0xffff, v25
	v_ashrrev_i32_e32 v20, 31, v19
	v_add_co_u32 v17, vcc_lo, v12, v17
	v_mul_lo_u16 v24, 0xf1, v27
	v_add_nc_u32_e32 v47, v45, v23
	v_ashrrev_i32_e32 v23, 31, v22
	v_lshlrev_b64 v[19:20], 2, v[19:20]
	v_add_co_ci_u32_e32 v18, vcc_lo, v13, v18, vcc_lo
	v_lshrrev_b16 v46, 13, v24
	v_add_nc_u32_e32 v48, v47, v28
	v_mad_u64_u32 v[24:25], null, v47, s6, v[3:4]
	v_lshlrev_b64 v[22:23], 2, v[22:23]
	s_delay_alu instid0(VALU_DEP_4) | instskip(NEXT) | instid1(VALU_DEP_4)
	v_mul_lo_u16 v29, v46, 34
	v_add_nc_u32_e32 v49, v48, v26
	v_add_co_u32 v19, vcc_lo, v12, v19
	v_add_co_ci_u32_e32 v20, vcc_lo, v13, v20, vcc_lo
	s_delay_alu instid0(VALU_DEP_4) | instskip(NEXT) | instid1(VALU_DEP_4)
	v_sub_nc_u16 v27, v27, v29
	v_mad_u64_u32 v[29:30], null, v49, s6, v[5:6]
	v_ashrrev_i32_e32 v25, 31, v24
	v_add_co_u32 v22, vcc_lo, v12, v22
	s_delay_alu instid0(VALU_DEP_4) | instskip(SKIP_3) | instid1(VALU_DEP_4)
	v_and_b32_e32 v26, 0xff, v27
	v_mad_u64_u32 v[27:28], null, v48, s6, v[4:5]
	v_and_b32_e32 v28, 0xffff, v31
	v_lshlrev_b64 v[24:25], 2, v[24:25]
	v_or_b32_e32 v35, 0x80, v26
	v_ashrrev_i32_e32 v30, 31, v29
	v_add_co_ci_u32_e32 v23, vcc_lo, v13, v23, vcc_lo
	v_add_nc_u32_e32 v50, v49, v28
	s_delay_alu instid0(VALU_DEP_4) | instskip(SKIP_2) | instid1(VALU_DEP_4)
	v_mul_lo_u16 v34, 0xf1, v35
	v_ashrrev_i32_e32 v28, 31, v27
	v_add_co_u32 v24, vcc_lo, v12, v24
	v_mad_u64_u32 v[31:32], null, v50, s6, v[6:7]
	v_and_b32_e32 v32, 0xffff, v33
	v_lshrrev_b16 v51, 13, v34
	v_lshlrev_b64 v[27:28], 2, v[27:28]
	v_lshlrev_b64 v[29:30], 2, v[29:30]
	v_add_co_ci_u32_e32 v25, vcc_lo, v13, v25, vcc_lo
	v_add_nc_u32_e32 v52, v50, v32
	v_mul_lo_u16 v38, v51, 34
	v_ashrrev_i32_e32 v32, 31, v31
	v_add_co_u32 v27, vcc_lo, v12, v27
	s_delay_alu instid0(VALU_DEP_4) | instskip(NEXT) | instid1(VALU_DEP_4)
	v_mad_u64_u32 v[33:34], null, v52, s6, v[7:8]
	v_sub_nc_u16 v34, v35, v38
	v_add_nc_u32_e32 v54, v52, v36
	v_and_b32_e32 v38, 0xffff, v37
	v_lshlrev_b64 v[31:32], 2, v[31:32]
	v_add_co_ci_u32_e32 v28, vcc_lo, v13, v28, vcc_lo
	v_and_b32_e32 v35, 0xff, v34
	s_delay_alu instid0(VALU_DEP_4) | instskip(SKIP_2) | instid1(VALU_DEP_4)
	v_add_nc_u32_e32 v55, v54, v38
	v_ashrrev_i32_e32 v34, 31, v33
	v_mad_u64_u32 v[36:37], null, v54, s6, v[8:9]
	v_or_b32_e32 v53, 0x80, v35
	v_add_co_u32 v29, vcc_lo, v12, v29
	s_delay_alu instid0(VALU_DEP_4) | instskip(SKIP_1) | instid1(VALU_DEP_4)
	v_lshlrev_b64 v[33:34], 2, v[33:34]
	v_add_co_ci_u32_e32 v30, vcc_lo, v13, v30, vcc_lo
	v_mul_lo_u16 v39, 0xf1, v53
	v_add_co_u32 v31, vcc_lo, v12, v31
	v_ashrrev_i32_e32 v37, 31, v36
	v_add_co_ci_u32_e32 v32, vcc_lo, v13, v32, vcc_lo
	s_delay_alu instid0(VALU_DEP_4) | instskip(SKIP_3) | instid1(VALU_DEP_4)
	v_lshrrev_b16 v56, 13, v39
	v_mad_u64_u32 v[38:39], null, v55, s6, v[9:10]
	v_and_b32_e32 v39, 0xffff, v40
	v_add_co_u32 v33, vcc_lo, v12, v33
	v_mul_lo_u16 v57, v56, 34
	v_add_co_ci_u32_e32 v34, vcc_lo, v13, v34, vcc_lo
	s_delay_alu instid0(VALU_DEP_4) | instskip(SKIP_1) | instid1(VALU_DEP_4)
	v_add_nc_u32_e32 v64, v55, v39
	v_ashrrev_i32_e32 v39, 31, v38
	v_sub_nc_u16 v40, v53, v57
	s_clause 0x7
	global_load_b32 v53, v[17:18], off
	global_load_b32 v57, v[19:20], off
	;; [unrolled: 1-line block ×8, first 2 shown]
	v_lshlrev_b64 v[17:18], 2, v[36:37]
	v_and_b32_e32 v20, 0xffff, v41
	v_lshlrev_b64 v[24:25], 2, v[38:39]
	v_and_b32_e32 v19, 0xff, v40
	v_mad_u64_u32 v[22:23], null, v64, s6, v[10:11]
	v_add_co_u32 v17, vcc_lo, v12, v17
	v_add_co_ci_u32_e32 v18, vcc_lo, v13, v18, vcc_lo
	v_add_co_u32 v24, vcc_lo, v12, v24
	v_add_co_ci_u32_e32 v25, vcc_lo, v13, v25, vcc_lo
	s_clause 0x1
	global_load_b32 v71, v[17:18], off
	global_load_b32 v25, v[24:25], off
	v_or_b32_e32 v29, 0x80, v19
	v_add_nc_u32_e32 v65, v64, v20
	v_and_b32_e32 v20, 0xffff, v42
	v_ashrrev_i32_e32 v23, 31, v22
	v_and_b32_e32 v40, 0xffff, v56
	v_mul_lo_u16 v27, 0xf1, v29
	v_mad_u32_u24 v15, v45, 34, v2
	v_add_nc_u32_e32 v66, v65, v20
	v_and_b32_e32 v20, 0xffff, v43
	v_lshlrev_b64 v[22:23], 2, v[22:23]
	v_lshrrev_b16 v39, 13, v27
	v_mad_u64_u32 v[27:28], null, v65, s6, v[11:12]
	s_delay_alu instid0(VALU_DEP_4) | instskip(SKIP_1) | instid1(VALU_DEP_4)
	v_add_nc_u32_e32 v43, v66, v20
	v_mad_u32_u24 v3, v47, 34, v3
	v_mul_lo_u16 v30, v39, 34
	v_and_b32_e32 v41, 0xffff, v39
	s_delay_alu instid0(VALU_DEP_4) | instskip(NEXT) | instid1(VALU_DEP_3)
	v_mad_u64_u32 v[31:32], null, v43, s6, v[21:22]
	v_sub_nc_u16 v20, v29, v30
	v_ashrrev_i32_e32 v28, 31, v27
	v_mad_u64_u32 v[29:30], null, v66, s6, v[16:17]
	v_and_b32_e32 v30, 0xffff, v46
	s_delay_alu instid0(VALU_DEP_4) | instskip(NEXT) | instid1(VALU_DEP_4)
	v_and_b32_e32 v20, 0xff, v20
	v_lshlrev_b64 v[27:28], 2, v[27:28]
	v_ashrrev_i32_e32 v32, 31, v31
	v_add_co_u32 v22, vcc_lo, v12, v22
	v_add_nc_u32_e32 v46, v43, v30
	v_or_b32_e32 v38, 0x80, v20
	v_ashrrev_i32_e32 v30, 31, v29
	v_add_co_ci_u32_e32 v23, vcc_lo, v13, v23, vcc_lo
	s_delay_alu instid0(VALU_DEP_4) | instskip(SKIP_4) | instid1(VALU_DEP_4)
	v_mad_u64_u32 v[33:34], null, v46, s6, v[26:27]
	v_and_b32_e32 v34, 0xffff, v51
	v_mul_lo_u16 v36, 0xf1, v38
	v_lshlrev_b64 v[29:30], 2, v[29:30]
	v_add_co_u32 v27, vcc_lo, v12, v27
	v_add_nc_u32_e32 v51, v46, v34
	s_delay_alu instid0(VALU_DEP_4)
	v_lshrrev_b16 v67, 13, v36
	v_ashrrev_i32_e32 v34, 31, v33
	v_lshlrev_b64 v[31:32], 2, v[31:32]
	v_add_co_ci_u32_e32 v28, vcc_lo, v13, v28, vcc_lo
	v_mad_u64_u32 v[36:37], null, v51, s6, v[35:36]
	v_mul_lo_u16 v37, v67, 34
	v_add_nc_u32_e32 v56, v51, v40
	v_add_co_u32 v29, vcc_lo, v12, v29
	v_lshlrev_b64 v[33:34], 2, v[33:34]
	s_delay_alu instid0(VALU_DEP_4) | instskip(NEXT) | instid1(VALU_DEP_4)
	v_sub_nc_u16 v38, v38, v37
	v_mad_u64_u32 v[39:40], null, v56, s6, v[19:20]
	v_add_nc_u32_e32 v69, v56, v41
	v_ashrrev_i32_e32 v37, 31, v36
	s_delay_alu instid0(VALU_DEP_4) | instskip(SKIP_1) | instid1(VALU_DEP_4)
	v_and_b32_e32 v38, 0xff, v38
	v_add_co_ci_u32_e32 v30, vcc_lo, v13, v30, vcc_lo
	v_mad_u64_u32 v[41:42], null, v69, s6, v[20:21]
	s_delay_alu instid0(VALU_DEP_3) | instskip(SKIP_3) | instid1(VALU_DEP_4)
	v_or_b32_e32 v68, 0x80, v38
	v_and_b32_e32 v42, 0xffff, v67
	v_add_co_u32 v31, vcc_lo, v12, v31
	v_lshlrev_b64 v[36:37], 2, v[36:37]
	v_mul_lo_u16 v40, 0xf1, v68
	s_delay_alu instid0(VALU_DEP_4) | instskip(SKIP_2) | instid1(VALU_DEP_4)
	v_add_nc_u32_e32 v72, v69, v42
	v_add_co_ci_u32_e32 v32, vcc_lo, v13, v32, vcc_lo
	v_add_co_u32 v33, vcc_lo, v12, v33
	v_lshrrev_b16 v70, 13, v40
	v_add_co_ci_u32_e32 v34, vcc_lo, v13, v34, vcc_lo
	v_mad_u64_u32 v[17:18], null, v72, s6, v[38:39]
	s_delay_alu instid0(VALU_DEP_3) | instskip(SKIP_3) | instid1(VALU_DEP_4)
	v_mul_lo_u16 v67, v70, 34
	v_and_b32_e32 v24, 0xffff, v70
	v_add_co_u32 v36, vcc_lo, v12, v36
	v_ashrrev_i32_e32 v40, 31, v39
	v_sub_nc_u16 v67, v68, v67
	s_delay_alu instid0(VALU_DEP_4) | instskip(SKIP_2) | instid1(VALU_DEP_4)
	v_add_nc_u32_e32 v68, v72, v24
	v_add_co_ci_u32_e32 v37, vcc_lo, v13, v37, vcc_lo
	v_ashrrev_i32_e32 v42, 31, v41
	v_and_b32_e32 v24, 0xff, v67
	s_clause 0x5
	global_load_b32 v67, v[22:23], off
	global_load_b32 v70, v[27:28], off
	;; [unrolled: 1-line block ×6, first 2 shown]
	v_lshlrev_b64 v[22:23], 2, v[39:40]
	v_ashrrev_i32_e32 v18, 31, v17
	v_lshlrev_b64 v[29:30], 2, v[41:42]
	s_delay_alu instid0(VALU_DEP_3) | instskip(NEXT) | instid1(VALU_DEP_3)
	v_add_co_u32 v22, vcc_lo, v12, v22
	v_lshlrev_b64 v[17:18], 2, v[17:18]
	v_add_co_ci_u32_e32 v23, vcc_lo, v13, v23, vcc_lo
	s_delay_alu instid0(VALU_DEP_4) | instskip(SKIP_1) | instid1(VALU_DEP_4)
	v_add_co_u32 v29, vcc_lo, v12, v29
	v_add_co_ci_u32_e32 v30, vcc_lo, v13, v30, vcc_lo
	v_add_co_u32 v17, vcc_lo, v12, v17
	v_add_co_ci_u32_e32 v18, vcc_lo, v13, v18, vcc_lo
	s_waitcnt vmcnt(6)
	v_mad_u64_u32 v[27:28], null, v68, s6, v[24:25]
	s_delay_alu instid0(VALU_DEP_1) | instskip(NEXT) | instid1(VALU_DEP_1)
	v_ashrrev_i32_e32 v28, 31, v27
	v_lshlrev_b64 v[27:28], 2, v[27:28]
	s_delay_alu instid0(VALU_DEP_1) | instskip(NEXT) | instid1(VALU_DEP_2)
	v_add_co_u32 v27, vcc_lo, v12, v27
	v_add_co_ci_u32_e32 v28, vcc_lo, v13, v28, vcc_lo
	s_clause 0x3
	global_load_b32 v22, v[22:23], off
	global_load_b32 v23, v[29:30], off
	;; [unrolled: 1-line block ×4, first 2 shown]
	ds_store_b32 v14, v53
	v_lshl_add_u32 v14, v1, 2, 0
	v_mad_u64_u32 v[1:2], null, v50, 34, v[6:7]
	v_mad_u32_u24 v2, v48, 34, v4
	v_mad_u32_u24 v4, v49, 34, v5
	ds_store_b32 v14, v57
	v_lshl_add_u32 v6, v3, 2, 0
	v_lshl_add_u32 v5, v15, 2, 0
	;; [unrolled: 1-line block ×4, first 2 shown]
	v_mad_u64_u32 v[1:2], null, v52, 34, v[7:8]
	v_mad_u64_u32 v[2:3], null, v54, 34, v[8:9]
	v_lshl_add_u32 v15, v4, 2, 0
	v_mad_u64_u32 v[3:4], null, v55, 34, v[9:10]
	ds_store_b32 v5, v58
	ds_store_b32 v6, v59
	;; [unrolled: 1-line block ×5, first 2 shown]
	v_lshl_add_u32 v5, v1, 2, 0
	v_or_b32_e32 v8, 0x80, v24
	v_lshl_add_u32 v6, v2, 2, 0
	v_mad_u64_u32 v[1:2], null, v64, 34, v[10:11]
	v_lshl_add_u32 v7, v3, 2, 0
	v_mad_u64_u32 v[2:3], null, v65, 34, v[11:12]
	ds_store_b32 v5, v63
	ds_store_b32 v6, v71
	;; [unrolled: 1-line block ×3, first 2 shown]
	v_lshl_add_u32 v6, v2, 2, 0
	s_waitcnt vmcnt(1)
	v_mad_u64_u32 v[3:4], null, v66, 34, v[16:17]
	v_mad_u64_u32 v[4:5], null, v43, 34, v[21:22]
	v_lshl_add_u32 v5, v1, 2, 0
	v_mad_u64_u32 v[1:2], null, v46, 34, v[26:27]
	ds_store_b32 v5, v67
	ds_store_b32 v6, v70
	v_lshl_add_u32 v7, v3, 2, 0
	v_mad_u64_u32 v[2:3], null, v51, 34, v[35:36]
	v_lshl_add_u32 v3, v4, 2, 0
	v_mul_lo_u16 v5, 0xf1, v8
	ds_store_b32 v7, v73
	ds_store_b32 v3, v31
	v_lshl_add_u32 v7, v1, 2, 0
	v_lshl_add_u32 v9, v2, 2, 0
	v_mad_u64_u32 v[1:2], null, v56, 34, v[19:20]
	v_lshrrev_b16 v2, 13, v5
	v_mad_u64_u32 v[3:4], null, v69, 34, v[20:21]
	v_mad_u64_u32 v[4:5], null, v72, 34, v[38:39]
	;; [unrolled: 1-line block ×3, first 2 shown]
	s_delay_alu instid0(VALU_DEP_4)
	v_mul_lo_u16 v6, v2, 34
	v_and_b32_e32 v2, 0xffff, v2
	ds_store_b32 v7, v32
	ds_store_b32 v9, v33
	v_lshl_add_u32 v7, v1, 2, 0
	v_lshl_add_u32 v3, v3, 2, 0
	v_sub_nc_u16 v1, v8, v6
	v_add_nc_u32_e32 v2, v68, v2
	v_lshl_add_u32 v4, v4, 2, 0
	v_lshl_add_u32 v5, v5, 2, 0
	ds_store_b32 v7, v22
	ds_store_b32 v3, v23
	;; [unrolled: 1-line block ×3, first 2 shown]
	s_waitcnt vmcnt(0)
	ds_store_b32 v5, v18
	v_and_b32_e32 v1, 0xff, v1
	v_cmpx_gt_u32_e32 0x80, v2
	s_cbranch_execz .LBB1_2
; %bb.1:
	s_delay_alu instid0(VALU_DEP_2) | instskip(NEXT) | instid1(VALU_DEP_1)
	v_mad_u64_u32 v[3:4], null, v2, s6, v[1:2]
	v_ashrrev_i32_e32 v4, 31, v3
	s_delay_alu instid0(VALU_DEP_1) | instskip(NEXT) | instid1(VALU_DEP_1)
	v_lshlrev_b64 v[3:4], 2, v[3:4]
	v_add_co_u32 v3, vcc_lo, v12, v3
	s_delay_alu instid0(VALU_DEP_2) | instskip(SKIP_2) | instid1(VALU_DEP_1)
	v_add_co_ci_u32_e32 v4, vcc_lo, v13, v4, vcc_lo
	global_load_b32 v5, v[3:4], off
	v_mad_u64_u32 v[3:4], null, v2, 34, v[1:2]
	v_lshl_add_u32 v3, v3, 2, 0
	s_waitcnt vmcnt(0)
	ds_store_b32 v3, v5
.LBB1_2:
	s_or_b32 exec_lo, exec_lo, s4
	s_delay_alu instid0(VALU_DEP_2) | instskip(SKIP_1) | instid1(VALU_DEP_1)
	v_or_b32_e32 v1, 0x80, v1
	s_mov_b32 s4, exec_lo
	v_mul_lo_u16 v3, 0xf1, v1
	s_delay_alu instid0(VALU_DEP_1) | instskip(NEXT) | instid1(VALU_DEP_1)
	v_lshrrev_b16 v3, 13, v3
	v_mul_lo_u16 v4, v3, 34
	v_and_b32_e32 v3, 0xffff, v3
	s_delay_alu instid0(VALU_DEP_2) | instskip(NEXT) | instid1(VALU_DEP_2)
	v_sub_nc_u16 v1, v1, v4
	v_add_nc_u32_e32 v2, v2, v3
	s_delay_alu instid0(VALU_DEP_2) | instskip(NEXT) | instid1(VALU_DEP_2)
	v_and_b32_e32 v1, 0xff, v1
	v_cmpx_gt_u32_e32 0x80, v2
	s_cbranch_execz .LBB1_4
; %bb.3:
	s_delay_alu instid0(VALU_DEP_2) | instskip(NEXT) | instid1(VALU_DEP_1)
	v_mad_u64_u32 v[3:4], null, v2, s6, v[1:2]
	v_ashrrev_i32_e32 v4, 31, v3
	s_delay_alu instid0(VALU_DEP_1) | instskip(NEXT) | instid1(VALU_DEP_1)
	v_lshlrev_b64 v[3:4], 2, v[3:4]
	v_add_co_u32 v3, vcc_lo, v12, v3
	s_delay_alu instid0(VALU_DEP_2) | instskip(SKIP_2) | instid1(VALU_DEP_1)
	v_add_co_ci_u32_e32 v4, vcc_lo, v13, v4, vcc_lo
	global_load_b32 v5, v[3:4], off
	v_mad_u64_u32 v[3:4], null, v2, 34, v[1:2]
	v_lshl_add_u32 v3, v3, 2, 0
	s_waitcnt vmcnt(0)
	ds_store_b32 v3, v5
.LBB1_4:
	s_or_b32 exec_lo, exec_lo, s4
	s_delay_alu instid0(VALU_DEP_2) | instskip(SKIP_1) | instid1(VALU_DEP_1)
	v_or_b32_e32 v1, 0x80, v1
	s_mov_b32 s4, exec_lo
	v_mul_lo_u16 v3, 0xf1, v1
	s_delay_alu instid0(VALU_DEP_1) | instskip(NEXT) | instid1(VALU_DEP_1)
	v_lshrrev_b16 v3, 13, v3
	v_mul_lo_u16 v4, v3, 34
	v_and_b32_e32 v3, 0xffff, v3
	s_delay_alu instid0(VALU_DEP_2) | instskip(NEXT) | instid1(VALU_DEP_2)
	v_sub_nc_u16 v1, v1, v4
	v_add_nc_u32_e32 v2, v2, v3
	s_delay_alu instid0(VALU_DEP_2) | instskip(NEXT) | instid1(VALU_DEP_2)
	;; [unrolled: 31-line block ×6, first 2 shown]
	v_and_b32_e32 v1, 0xff, v1
	v_cmpx_gt_u32_e32 0x80, v2
	s_cbranch_execz .LBB1_14
; %bb.13:
	s_delay_alu instid0(VALU_DEP_2) | instskip(NEXT) | instid1(VALU_DEP_1)
	v_mad_u64_u32 v[3:4], null, v2, s6, v[1:2]
	v_ashrrev_i32_e32 v4, 31, v3
	s_delay_alu instid0(VALU_DEP_1) | instskip(NEXT) | instid1(VALU_DEP_1)
	v_lshlrev_b64 v[3:4], 2, v[3:4]
	v_add_co_u32 v3, vcc_lo, v12, v3
	s_delay_alu instid0(VALU_DEP_2) | instskip(SKIP_2) | instid1(VALU_DEP_1)
	v_add_co_ci_u32_e32 v4, vcc_lo, v13, v4, vcc_lo
	global_load_b32 v5, v[3:4], off
	v_mad_u64_u32 v[3:4], null, v2, 34, v[1:2]
	v_lshl_add_u32 v3, v3, 2, 0
	s_waitcnt vmcnt(0)
	ds_store_b32 v3, v5
.LBB1_14:
	s_or_b32 exec_lo, exec_lo, s4
	s_clause 0x1
	s_load_b128 s[8:11], s[0:1], 0x8
	s_load_b64 s[4:5], s[0:1], 0x28
	s_mov_b32 s12, exec_lo
	v_cmpx_gt_u32_e32 0x380, v0
	s_cbranch_execz .LBB1_35
; %bb.15:
	v_or_b32_e32 v1, 0x80, v1
	s_mov_b32 s16, exec_lo
	s_delay_alu instid0(VALU_DEP_1) | instskip(NEXT) | instid1(VALU_DEP_1)
	v_mul_lo_u16 v3, 0xf1, v1
	v_lshrrev_b16 v3, 13, v3
	s_delay_alu instid0(VALU_DEP_1) | instskip(SKIP_1) | instid1(VALU_DEP_2)
	v_mul_lo_u16 v4, v3, 34
	v_and_b32_e32 v3, 0xffff, v3
	v_sub_nc_u16 v1, v1, v4
	s_delay_alu instid0(VALU_DEP_2) | instskip(NEXT) | instid1(VALU_DEP_2)
	v_add_nc_u32_e32 v2, v2, v3
	v_and_b32_e32 v1, 0xff, v1
	s_delay_alu instid0(VALU_DEP_2)
	v_cmpx_gt_u32_e32 0x80, v2
	s_cbranch_execz .LBB1_17
; %bb.16:
	s_delay_alu instid0(VALU_DEP_2) | instskip(NEXT) | instid1(VALU_DEP_1)
	v_mad_u64_u32 v[3:4], null, v2, s6, v[1:2]
	v_ashrrev_i32_e32 v4, 31, v3
	s_delay_alu instid0(VALU_DEP_1) | instskip(NEXT) | instid1(VALU_DEP_1)
	v_lshlrev_b64 v[3:4], 2, v[3:4]
	v_add_co_u32 v3, vcc_lo, v12, v3
	s_delay_alu instid0(VALU_DEP_2) | instskip(SKIP_2) | instid1(VALU_DEP_1)
	v_add_co_ci_u32_e32 v4, vcc_lo, v13, v4, vcc_lo
	global_load_b32 v5, v[3:4], off
	v_mad_u64_u32 v[3:4], null, v2, 34, v[1:2]
	v_lshl_add_u32 v3, v3, 2, 0
	s_waitcnt vmcnt(0)
	ds_store_b32 v3, v5
.LBB1_17:
	s_or_b32 exec_lo, exec_lo, s16
	v_cmp_gt_u32_e32 vcc_lo, 0x300, v0
	s_and_b32 exec_lo, exec_lo, vcc_lo
	s_cbranch_execz .LBB1_35
; %bb.18:
	v_or_b32_e32 v1, 0x80, v1
	s_mov_b32 s16, exec_lo
	s_delay_alu instid0(VALU_DEP_1) | instskip(NEXT) | instid1(VALU_DEP_1)
	v_mul_lo_u16 v3, 0xf1, v1
	v_lshrrev_b16 v3, 13, v3
	s_delay_alu instid0(VALU_DEP_1) | instskip(SKIP_1) | instid1(VALU_DEP_2)
	v_mul_lo_u16 v4, v3, 34
	v_and_b32_e32 v3, 0xffff, v3
	v_sub_nc_u16 v1, v1, v4
	s_delay_alu instid0(VALU_DEP_2) | instskip(NEXT) | instid1(VALU_DEP_2)
	v_add_nc_u32_e32 v2, v2, v3
	v_and_b32_e32 v1, 0xff, v1
	s_delay_alu instid0(VALU_DEP_2)
	v_cmpx_gt_u32_e32 0x80, v2
	s_cbranch_execz .LBB1_20
; %bb.19:
	s_delay_alu instid0(VALU_DEP_2) | instskip(NEXT) | instid1(VALU_DEP_1)
	v_mad_u64_u32 v[3:4], null, v2, s6, v[1:2]
	v_ashrrev_i32_e32 v4, 31, v3
	s_delay_alu instid0(VALU_DEP_1) | instskip(NEXT) | instid1(VALU_DEP_1)
	v_lshlrev_b64 v[3:4], 2, v[3:4]
	v_add_co_u32 v3, vcc_lo, v12, v3
	s_delay_alu instid0(VALU_DEP_2) | instskip(SKIP_2) | instid1(VALU_DEP_1)
	v_add_co_ci_u32_e32 v4, vcc_lo, v13, v4, vcc_lo
	global_load_b32 v5, v[3:4], off
	v_mad_u64_u32 v[3:4], null, v2, 34, v[1:2]
	v_lshl_add_u32 v3, v3, 2, 0
	s_waitcnt vmcnt(0)
	ds_store_b32 v3, v5
.LBB1_20:
	s_or_b32 exec_lo, exec_lo, s16
	v_cmp_gt_u32_e32 vcc_lo, 0x280, v0
	s_and_b32 exec_lo, exec_lo, vcc_lo
	;; [unrolled: 35-line block ×6, first 2 shown]
	s_cbranch_execz .LBB1_35
; %bb.33:
	v_or_b32_e32 v3, 0x80, v1
	s_delay_alu instid0(VALU_DEP_1) | instskip(NEXT) | instid1(VALU_DEP_1)
	v_mul_lo_u16 v1, 0xf1, v3
	v_lshrrev_b16 v4, 13, v1
	s_delay_alu instid0(VALU_DEP_1) | instskip(NEXT) | instid1(VALU_DEP_1)
	v_and_b32_e32 v1, 0xffff, v4
	v_add_nc_u32_e32 v1, v2, v1
	s_delay_alu instid0(VALU_DEP_1)
	v_cmp_gt_u32_e32 vcc_lo, 0x80, v1
	s_and_b32 exec_lo, exec_lo, vcc_lo
	s_cbranch_execz .LBB1_35
; %bb.34:
	v_mul_lo_u16 v2, v4, 34
	s_delay_alu instid0(VALU_DEP_1) | instskip(NEXT) | instid1(VALU_DEP_1)
	v_sub_nc_u16 v2, v3, v2
	v_and_b32_e32 v2, 0xff, v2
	s_delay_alu instid0(VALU_DEP_1) | instskip(NEXT) | instid1(VALU_DEP_1)
	v_mad_u64_u32 v[3:4], null, v1, s6, v[2:3]
	v_ashrrev_i32_e32 v4, 31, v3
	s_delay_alu instid0(VALU_DEP_1) | instskip(NEXT) | instid1(VALU_DEP_1)
	v_lshlrev_b64 v[3:4], 2, v[3:4]
	v_add_co_u32 v3, vcc_lo, v12, v3
	s_delay_alu instid0(VALU_DEP_2) | instskip(SKIP_2) | instid1(VALU_DEP_1)
	v_add_co_ci_u32_e32 v4, vcc_lo, v13, v4, vcc_lo
	global_load_b32 v5, v[3:4], off
	v_mad_u64_u32 v[3:4], null, v1, 34, v[2:3]
	v_lshl_add_u32 v1, v3, 2, 0
	s_waitcnt vmcnt(0)
	ds_store_b32 v1, v5
.LBB1_35:
	s_or_b32 exec_lo, exec_lo, s12
	s_ashr_i32 s6, s7, 31
	s_mul_hi_u32 s12, s2, s7
	s_mul_i32 s6, s2, s6
	s_mul_i32 s16, s3, s7
	s_add_i32 s6, s12, s6
	s_mul_i32 s12, s2, s7
	s_add_i32 s6, s6, s16
	s_waitcnt lgkmcnt(0)
	s_add_u32 s8, s8, s12
	s_addc_u32 s6, s9, s6
	s_ashr_i32 s7, s7, 2
	s_delay_alu instid0(SALU_CYCLE_1)
	v_mul_lo_u32 v1, s7, v0
	s_barrier
	buffer_gl0_inv
	v_lshlrev_b32_e32 v8, 2, v0
	s_cmp_eq_u64 s[10:11], 0
	v_ashrrev_i32_e32 v2, 31, v1
	s_delay_alu instid0(VALU_DEP_1) | instskip(NEXT) | instid1(VALU_DEP_1)
	v_lshlrev_b64 v[1:2], 2, v[1:2]
	v_add_co_u32 v1, vcc_lo, s8, v1
	s_delay_alu instid0(VALU_DEP_2)
	v_add_co_ci_u32_e32 v2, vcc_lo, s6, v2, vcc_lo
	global_load_b96 v[1:3], v[1:2], off
	s_cbranch_scc1 .LBB1_37
; %bb.36:
	s_lshl_b64 s[6:7], s[2:3], 2
	s_delay_alu instid0(SALU_CYCLE_1)
	s_add_u32 s6, s10, s6
	s_addc_u32 s7, s11, s7
	global_load_b32 v9, v8, s[6:7]
	s_branch .LBB1_38
.LBB1_37:
	v_mov_b32_e32 v9, 0
.LBB1_38:
	s_load_b64 s[6:7], s[0:1], 0x40
	s_waitcnt lgkmcnt(0)
	s_sub_u32 s8, s6, s14
	s_subb_u32 s9, s7, s15
	s_delay_alu instid0(SALU_CYCLE_1) | instskip(NEXT) | instid1(VALU_DEP_1)
	v_cmp_lt_i64_e64 s6, s[8:9], 1
	s_and_b32 vcc_lo, exec_lo, s6
	s_cbranch_vccnz .LBB1_45
; %bb.39:
	s_load_b128 s[20:23], s[0:1], 0x30
	v_cmp_lt_i64_e64 s0, s[8:9], 32
	v_mul_u32_u24_e32 v0, 34, v0
	s_waitcnt lgkmcnt(0)
	s_ashr_i32 s1, s21, 31
	s_ashr_i32 s11, s20, 31
	s_mul_hi_u32 s7, s14, s21
	s_mul_hi_u32 s12, s2, s20
	s_mul_i32 s1, s14, s1
	s_mul_i32 s11, s2, s11
	;; [unrolled: 1-line block ×5, first 2 shown]
	s_add_i32 s18, s7, s1
	s_add_i32 s17, s12, s11
	s_ashr_i32 s6, s21, 2
	s_ashr_i32 s15, s16, 31
	s_add_i32 s18, s18, s10
	s_add_i32 s17, s17, s3
	s_and_b32 s0, s0, exec_lo
	s_cselect_b32 s1, s9, 0
	s_cselect_b32 s0, s8, 32
	s_ashr_i32 s7, s6, 31
	v_cmp_gt_i64_e64 s1, s[0:1], 1
	s_mov_b32 s3, 0
	s_mul_i32 s19, s14, s21
	s_mul_i32 s14, s2, s20
	s_delay_alu instid0(VALU_DEP_1)
	s_and_b32 s1, s1, exec_lo
	s_cselect_b32 s20, s0, 1
	s_cmp_eq_u64 s[8:9], 1
	s_mov_b64 s[0:1], 0
	s_cbranch_scc1 .LBB1_43
; %bb.40:
	v_lshl_add_u32 v10, v0, 2, 0
	s_and_b32 s2, s20, 62
	s_lshl_b64 s[8:9], s[6:7], 2
	s_add_u32 s0, s14, s19
	s_addc_u32 s1, s17, s18
	ds_load_b32 v5, v10
	s_add_u32 s10, s4, s16
	s_addc_u32 s11, s5, s15
	s_add_u32 s0, s10, s0
	s_addc_u32 s1, s11, s1
	v_add_co_u32 v6, s0, s0, v8
	s_delay_alu instid0(VALU_DEP_1)
	v_add_co_ci_u32_e64 v7, null, s1, 0, s0
	s_lshl_b64 s[10:11], s[6:7], 3
	s_mov_b64 s[12:13], 0
.LBB1_41:                               ; =>This Inner Loop Header: Depth=1
	s_waitcnt vmcnt(0) lgkmcnt(0)
	v_fma_f32 v13, v1, v5, 0
	ds_load_2addr_b32 v[4:5], v10 offset0:1 offset1:2
	ds_load_b32 v15, v10 offset:12
	v_add_nc_u32_e32 v14, 8, v10
	v_add_co_u32 v11, vcc_lo, v6, s8
	v_add_co_ci_u32_e32 v12, vcc_lo, s9, v7, vcc_lo
	s_add_u32 s12, s12, 2
	s_addc_u32 s13, s13, 0
	s_delay_alu instid0(SALU_CYCLE_1) | instskip(SKIP_3) | instid1(VALU_DEP_2)
	s_cmp_lg_u64 s[2:3], s[12:13]
	s_waitcnt lgkmcnt(1)
	v_fmac_f32_e32 v13, v2, v4
	v_fma_f32 v4, v1, v4, 0
	v_dual_mov_b32 v10, v14 :: v_dual_fmac_f32 v13, v3, v5
	s_delay_alu instid0(VALU_DEP_2) | instskip(SKIP_1) | instid1(VALU_DEP_1)
	v_fmac_f32_e32 v4, v2, v5
	s_waitcnt lgkmcnt(0)
	v_dual_add_f32 v13, v9, v13 :: v_dual_fmac_f32 v4, v3, v15
	s_delay_alu instid0(VALU_DEP_1) | instskip(NEXT) | instid1(VALU_DEP_2)
	v_cmp_nlt_f32_e32 vcc_lo, 0x42ce8ed0, v13
	v_add_f32_e32 v4, v9, v4
	v_mul_f32_e32 v14, 0xbfb8aa3b, v13
	v_cmp_ngt_f32_e64 s0, 0xc2b17218, v13
	s_delay_alu instid0(VALU_DEP_3) | instskip(NEXT) | instid1(VALU_DEP_3)
	v_mul_f32_e32 v17, 0xbfb8aa3b, v4
	v_fma_f32 v15, 0xbfb8aa3b, v13, -v14
	v_rndne_f32_e32 v16, v14
	s_delay_alu instid0(VALU_DEP_3) | instskip(NEXT) | instid1(VALU_DEP_3)
	v_rndne_f32_e32 v19, v17
	v_fmac_f32_e32 v15, 0xb2a5705f, v13
	v_fma_f32 v18, 0xbfb8aa3b, v4, -v17
	s_delay_alu instid0(VALU_DEP_1) | instskip(SKIP_2) | instid1(VALU_DEP_2)
	v_fmac_f32_e32 v18, 0xb2a5705f, v4
	v_sub_f32_e32 v14, v14, v16
	v_cvt_i32_f32_e32 v16, v16
	v_add_f32_e32 v14, v14, v15
	v_sub_f32_e32 v15, v17, v19
	v_cvt_i32_f32_e32 v17, v19
	s_delay_alu instid0(VALU_DEP_3) | instskip(NEXT) | instid1(VALU_DEP_2)
	v_exp_f32_e32 v14, v14
	v_add_f32_e32 v15, v15, v18
	s_delay_alu instid0(VALU_DEP_1) | instskip(SKIP_2) | instid1(VALU_DEP_1)
	v_exp_f32_e32 v15, v15
	s_waitcnt_depctr 0xfff
	v_ldexp_f32 v14, v14, v16
	v_cndmask_b32_e32 v14, 0, v14, vcc_lo
	v_ldexp_f32 v15, v15, v17
	v_cmp_nlt_f32_e32 vcc_lo, 0x42ce8ed0, v4
	s_delay_alu instid0(VALU_DEP_2) | instskip(SKIP_1) | instid1(VALU_DEP_2)
	v_cndmask_b32_e32 v15, 0, v15, vcc_lo
	v_cmp_ngt_f32_e32 vcc_lo, 0xc2b17218, v4
	v_cndmask_b32_e32 v15, 0x7f800000, v15, vcc_lo
	s_delay_alu instid0(VALU_DEP_1) | instskip(SKIP_1) | instid1(VALU_DEP_2)
	v_add_f32_e32 v15, 1.0, v15
	v_cndmask_b32_e64 v14, 0x7f800000, v14, s0
	v_div_scale_f32 v19, null, v15, v15, v4
	v_div_scale_f32 v20, s0, v4, v15, v4
	s_delay_alu instid0(VALU_DEP_2) | instskip(NEXT) | instid1(VALU_DEP_3)
	v_rcp_f32_e32 v21, v19
	v_add_f32_e32 v14, 1.0, v14
	s_delay_alu instid0(VALU_DEP_1) | instskip(NEXT) | instid1(VALU_DEP_1)
	v_div_scale_f32 v16, null, v14, v14, v13
	v_rcp_f32_e32 v18, v16
	s_waitcnt_depctr 0xfff
	v_fma_f32 v22, -v16, v18, 1.0
	s_delay_alu instid0(VALU_DEP_1) | instskip(SKIP_1) | instid1(VALU_DEP_1)
	v_fmac_f32_e32 v18, v22, v18
	v_fma_f32 v22, -v19, v21, 1.0
	v_fmac_f32_e32 v21, v22, v21
	v_div_scale_f32 v17, vcc_lo, v13, v14, v13
	s_delay_alu instid0(VALU_DEP_1) | instskip(NEXT) | instid1(VALU_DEP_1)
	v_mul_f32_e32 v23, v17, v18
	v_fma_f32 v22, -v16, v23, v17
	s_delay_alu instid0(VALU_DEP_1) | instskip(NEXT) | instid1(VALU_DEP_1)
	v_dual_mul_f32 v24, v20, v21 :: v_dual_fmac_f32 v23, v22, v18
	v_fma_f32 v22, -v19, v24, v20
	s_delay_alu instid0(VALU_DEP_2) | instskip(NEXT) | instid1(VALU_DEP_2)
	v_fma_f32 v16, -v16, v23, v17
	v_fmac_f32_e32 v24, v22, v21
	s_delay_alu instid0(VALU_DEP_2) | instskip(NEXT) | instid1(VALU_DEP_2)
	v_div_fmas_f32 v16, v16, v18, v23
	v_fma_f32 v17, -v19, v24, v20
	s_mov_b32 vcc_lo, s0
	s_delay_alu instid0(VALU_DEP_2) | instskip(NEXT) | instid1(VALU_DEP_2)
	v_div_fixup_f32 v13, v16, v14, v13
	v_div_fmas_f32 v14, v17, v21, v24
	global_store_b32 v[6:7], v13, off
	v_add_co_u32 v6, vcc_lo, v6, s10
	v_div_fixup_f32 v4, v14, v15, v4
	v_add_co_ci_u32_e32 v7, vcc_lo, s11, v7, vcc_lo
	global_store_b32 v[11:12], v4, off
	s_cbranch_scc1 .LBB1_41
; %bb.42:
	s_mov_b64 s[0:1], s[2:3]
.LBB1_43:
	s_and_b32 s2, s20, 1
	s_mov_b32 s3, 0
	s_delay_alu instid0(SALU_CYCLE_1)
	s_cmp_eq_u64 s[2:3], 0
	s_cbranch_scc1 .LBB1_45
; %bb.44:
	v_add_nc_u32_e32 v0, s0, v0
	s_add_u32 s2, s4, s16
	s_addc_u32 s3, s5, s15
	s_add_u32 s2, s2, s19
	s_mul_hi_i32 s1, s0, s6
	v_lshl_add_u32 v0, v0, 2, 0
	s_mul_i32 s0, s0, s6
	s_addc_u32 s3, s3, s18
	s_add_u32 s2, s2, s14
	s_addc_u32 s3, s3, s17
	ds_load_2addr_b32 v[4:5], v0 offset1:1
	ds_load_b32 v0, v0 offset:8
	s_lshl_b64 s[0:1], s[0:1], 2
	s_delay_alu instid0(SALU_CYCLE_1) | instskip(SKIP_3) | instid1(VALU_DEP_1)
	s_add_u32 s0, s0, s2
	s_addc_u32 s1, s1, s3
	s_waitcnt vmcnt(0) lgkmcnt(1)
	v_fma_f32 v1, v1, v4, 0
	v_fmac_f32_e32 v1, v2, v5
	s_waitcnt lgkmcnt(0)
	s_delay_alu instid0(VALU_DEP_1) | instskip(NEXT) | instid1(VALU_DEP_1)
	v_fmac_f32_e32 v1, v3, v0
	v_add_f32_e32 v0, v9, v1
	s_delay_alu instid0(VALU_DEP_1) | instskip(SKIP_1) | instid1(VALU_DEP_2)
	v_mul_f32_e32 v1, 0xbfb8aa3b, v0
	v_cmp_nlt_f32_e32 vcc_lo, 0x42ce8ed0, v0
	v_fma_f32 v2, 0xbfb8aa3b, v0, -v1
	v_rndne_f32_e32 v3, v1
	s_delay_alu instid0(VALU_DEP_1) | instskip(NEXT) | instid1(VALU_DEP_1)
	v_dual_fmamk_f32 v2, v0, 0xb2a5705f, v2 :: v_dual_sub_f32 v1, v1, v3
	v_add_f32_e32 v1, v1, v2
	v_cvt_i32_f32_e32 v2, v3
	s_delay_alu instid0(VALU_DEP_2) | instskip(SKIP_2) | instid1(VALU_DEP_1)
	v_exp_f32_e32 v1, v1
	s_waitcnt_depctr 0xfff
	v_ldexp_f32 v1, v1, v2
	v_cndmask_b32_e32 v1, 0, v1, vcc_lo
	v_cmp_ngt_f32_e32 vcc_lo, 0xc2b17218, v0
	s_delay_alu instid0(VALU_DEP_2) | instskip(NEXT) | instid1(VALU_DEP_1)
	v_cndmask_b32_e32 v1, 0x7f800000, v1, vcc_lo
	v_add_f32_e32 v1, 1.0, v1
	s_delay_alu instid0(VALU_DEP_1) | instskip(NEXT) | instid1(VALU_DEP_1)
	v_div_scale_f32 v2, null, v1, v1, v0
	v_rcp_f32_e32 v3, v2
	s_waitcnt_depctr 0xfff
	v_fma_f32 v4, -v2, v3, 1.0
	s_delay_alu instid0(VALU_DEP_1) | instskip(SKIP_1) | instid1(VALU_DEP_1)
	v_fmac_f32_e32 v3, v4, v3
	v_div_scale_f32 v5, vcc_lo, v0, v1, v0
	v_mul_f32_e32 v4, v5, v3
	s_delay_alu instid0(VALU_DEP_1) | instskip(NEXT) | instid1(VALU_DEP_1)
	v_fma_f32 v6, -v2, v4, v5
	v_fmac_f32_e32 v4, v6, v3
	s_delay_alu instid0(VALU_DEP_1) | instskip(NEXT) | instid1(VALU_DEP_1)
	v_fma_f32 v2, -v2, v4, v5
	v_div_fmas_f32 v2, v2, v3, v4
	s_delay_alu instid0(VALU_DEP_1)
	v_div_fixup_f32 v0, v2, v1, v0
	global_store_b32 v8, v0, s[0:1]
.LBB1_45:
	s_nop 0
	s_sendmsg sendmsg(MSG_DEALLOC_VGPRS)
	s_endpgm
	.section	.rodata,"a",@progbits
	.p2align	6, 0x0
	.amdhsa_kernel _ZL23ssm_conv_long_token_f32ILb1ELm128ELm3ELl32EEvPKfS1_S1_iiiiPfiiil
		.amdhsa_group_segment_fixed_size 0
		.amdhsa_private_segment_fixed_size 0
		.amdhsa_kernarg_size 72
		.amdhsa_user_sgpr_count 13
		.amdhsa_user_sgpr_dispatch_ptr 0
		.amdhsa_user_sgpr_queue_ptr 0
		.amdhsa_user_sgpr_kernarg_segment_ptr 1
		.amdhsa_user_sgpr_dispatch_id 0
		.amdhsa_user_sgpr_private_segment_size 0
		.amdhsa_wavefront_size32 1
		.amdhsa_uses_dynamic_stack 0
		.amdhsa_enable_private_segment 0
		.amdhsa_system_sgpr_workgroup_id_x 1
		.amdhsa_system_sgpr_workgroup_id_y 1
		.amdhsa_system_sgpr_workgroup_id_z 1
		.amdhsa_system_sgpr_workgroup_info 0
		.amdhsa_system_vgpr_workitem_id 0
		.amdhsa_next_free_vgpr 74
		.amdhsa_next_free_sgpr 24
		.amdhsa_reserve_vcc 1
		.amdhsa_float_round_mode_32 0
		.amdhsa_float_round_mode_16_64 0
		.amdhsa_float_denorm_mode_32 3
		.amdhsa_float_denorm_mode_16_64 3
		.amdhsa_dx10_clamp 1
		.amdhsa_ieee_mode 1
		.amdhsa_fp16_overflow 0
		.amdhsa_workgroup_processor_mode 1
		.amdhsa_memory_ordered 1
		.amdhsa_forward_progress 0
		.amdhsa_shared_vgpr_count 0
		.amdhsa_exception_fp_ieee_invalid_op 0
		.amdhsa_exception_fp_denorm_src 0
		.amdhsa_exception_fp_ieee_div_zero 0
		.amdhsa_exception_fp_ieee_overflow 0
		.amdhsa_exception_fp_ieee_underflow 0
		.amdhsa_exception_fp_ieee_inexact 0
		.amdhsa_exception_int_div_zero 0
	.end_amdhsa_kernel
	.section	.text._ZL23ssm_conv_long_token_f32ILb1ELm128ELm3ELl32EEvPKfS1_S1_iiiiPfiiil,"axG",@progbits,_ZL23ssm_conv_long_token_f32ILb1ELm128ELm3ELl32EEvPKfS1_S1_iiiiPfiiil,comdat
.Lfunc_end1:
	.size	_ZL23ssm_conv_long_token_f32ILb1ELm128ELm3ELl32EEvPKfS1_S1_iiiiPfiiil, .Lfunc_end1-_ZL23ssm_conv_long_token_f32ILb1ELm128ELm3ELl32EEvPKfS1_S1_iiiiPfiiil
                                        ; -- End function
	.section	.AMDGPU.csdata,"",@progbits
; Kernel info:
; codeLenInByte = 6936
; NumSgprs: 26
; NumVgprs: 74
; ScratchSize: 0
; MemoryBound: 0
; FloatMode: 240
; IeeeMode: 1
; LDSByteSize: 0 bytes/workgroup (compile time only)
; SGPRBlocks: 3
; VGPRBlocks: 9
; NumSGPRsForWavesPerEU: 26
; NumVGPRsForWavesPerEU: 74
; Occupancy: 16
; WaveLimiterHint : 0
; COMPUTE_PGM_RSRC2:SCRATCH_EN: 0
; COMPUTE_PGM_RSRC2:USER_SGPR: 13
; COMPUTE_PGM_RSRC2:TRAP_HANDLER: 0
; COMPUTE_PGM_RSRC2:TGID_X_EN: 1
; COMPUTE_PGM_RSRC2:TGID_Y_EN: 1
; COMPUTE_PGM_RSRC2:TGID_Z_EN: 1
; COMPUTE_PGM_RSRC2:TIDIG_COMP_CNT: 0
	.section	.text._ZL12ssm_conv_f32ILb1ELm128ELm4EEvPKfS1_S1_iiiiPfiiil,"axG",@progbits,_ZL12ssm_conv_f32ILb1ELm128ELm4EEvPKfS1_S1_iiiiPfiiil,comdat
	.globl	_ZL12ssm_conv_f32ILb1ELm128ELm4EEvPKfS1_S1_iiiiPfiiil ; -- Begin function _ZL12ssm_conv_f32ILb1ELm128ELm4EEvPKfS1_S1_iiiiPfiiil
	.p2align	8
	.type	_ZL12ssm_conv_f32ILb1ELm128ELm4EEvPKfS1_S1_iiiiPfiiil,@function
_ZL12ssm_conv_f32ILb1ELm128ELm4EEvPKfS1_S1_iiiiPfiiil: ; @_ZL12ssm_conv_f32ILb1ELm128ELm4EEvPKfS1_S1_iiiiPfiiil
; %bb.0:
	s_load_b64 s[4:5], s[0:1], 0x10
	s_mov_b32 s2, s15
	s_ashr_i32 s3, s15, 31
	v_lshlrev_b32_e32 v10, 2, v0
	s_lshl_b64 s[18:19], s[2:3], 7
	s_waitcnt lgkmcnt(0)
	s_cmp_eq_u64 s[4:5], 0
	s_cbranch_scc1 .LBB2_2
; %bb.1:
	s_lshl_b64 s[6:7], s[18:19], 2
	s_delay_alu instid0(SALU_CYCLE_1)
	s_add_u32 s4, s4, s6
	s_addc_u32 s5, s5, s7
	global_load_b32 v12, v10, s[4:5]
	s_load_b64 s[12:13], s[0:1], 0x40
	s_waitcnt lgkmcnt(0)
	v_cmp_lt_i64_e64 s4, s[12:13], 1
	s_delay_alu instid0(VALU_DEP_1)
	s_and_b32 vcc_lo, exec_lo, s4
	s_cbranch_vccz .LBB2_3
	s_branch .LBB2_6
.LBB2_2:
	v_mov_b32_e32 v12, 0
	s_load_b64 s[12:13], s[0:1], 0x40
	s_waitcnt lgkmcnt(0)
	v_cmp_lt_i64_e64 s4, s[12:13], 1
	s_delay_alu instid0(VALU_DEP_1)
	s_and_b32 vcc_lo, exec_lo, s4
	s_cbranch_vccnz .LBB2_6
.LBB2_3:
	s_clause 0x1
	s_load_b128 s[8:11], s[0:1], 0x1c
	s_load_b128 s[4:7], s[0:1], 0x30
	v_alignbit_b32 v1, s3, s2, 25
	s_clause 0x1
	s_load_b64 s[16:17], s[0:1], 0x28
	s_load_b128 s[0:3], s[0:1], 0x0
	s_waitcnt lgkmcnt(0)
	s_ashr_i32 s22, s8, 31
	s_ashr_i32 s11, s10, 31
	s_mul_hi_u32 s23, s18, s8
	s_mul_i32 s22, s18, s22
	s_mul_hi_u32 s20, s18, s10
	s_mul_i32 s7, s14, s9
	s_mul_i32 s24, s19, s8
	s_mul_i32 s9, s14, s6
	s_mul_i32 s14, s18, s11
	s_add_i32 s22, s23, s22
	s_ashr_i32 s21, s10, 2
	s_ashr_i32 s6, s7, 31
	;; [unrolled: 1-line block ×3, first 2 shown]
	s_add_i32 s26, s20, s14
	s_add_i32 s20, s22, s24
	s_add_u32 s22, s16, s9
	s_addc_u32 s23, s17, s11
	s_ashr_i32 s14, s4, 31
	s_mul_hi_u32 s25, s18, s4
	s_mul_i32 s24, s18, s14
	s_mul_i32 s19, s19, s4
	;; [unrolled: 1-line block ×3, first 2 shown]
	s_add_i32 s4, s25, s24
	v_mul_lo_u32 v3, v1, s10
	s_add_i32 s19, s4, s19
	s_add_u32 s22, s22, s14
	s_addc_u32 s23, s23, s19
	s_mul_i32 s15, s18, s8
	v_mul_lo_u32 v1, s21, v0
	s_add_u32 s4, s0, s7
	s_addc_u32 s21, s1, s6
	s_add_u32 s4, s4, s15
	s_addc_u32 s21, s21, s20
	s_ashr_i32 s8, s8, 2
	v_add_nc_u32_e32 v4, s26, v3
	v_mul_lo_u32 v0, s8, v0
	v_ashrrev_i32_e32 v2, 31, v1
	s_mul_i32 s8, s18, s10
	s_cmp_eq_u64 s[12:13], 1
	v_add_co_u32 v5, vcc_lo, s2, s8
	s_delay_alu instid0(VALU_DEP_2) | instskip(SKIP_2) | instid1(VALU_DEP_1)
	v_lshlrev_b64 v[2:3], 2, v[1:2]
	v_add_co_ci_u32_e32 v4, vcc_lo, s3, v4, vcc_lo
	v_ashrrev_i32_e32 v1, 31, v0
	v_lshlrev_b64 v[8:9], 2, v[0:1]
	s_delay_alu instid0(VALU_DEP_4) | instskip(NEXT) | instid1(VALU_DEP_4)
	v_add_co_u32 v0, vcc_lo, v5, v2
	v_add_co_ci_u32_e32 v1, vcc_lo, v4, v3, vcc_lo
	s_delay_alu instid0(VALU_DEP_3) | instskip(NEXT) | instid1(VALU_DEP_4)
	v_add_co_u32 v4, vcc_lo, s4, v8
	v_add_co_ci_u32_e32 v5, vcc_lo, s21, v9, vcc_lo
	global_load_b128 v[0:3], v[0:1], off
	global_load_b128 v[4:7], v[4:5], off
	s_waitcnt vmcnt(0)
	v_fma_f32 v11, v0, v4, 0
	s_delay_alu instid0(VALU_DEP_1) | instskip(NEXT) | instid1(VALU_DEP_1)
	v_fmac_f32_e32 v11, v1, v5
	v_fmac_f32_e32 v11, v2, v6
	s_delay_alu instid0(VALU_DEP_1) | instskip(NEXT) | instid1(VALU_DEP_1)
	v_fmac_f32_e32 v11, v3, v7
	v_add_f32_e32 v11, v12, v11
	s_delay_alu instid0(VALU_DEP_1) | instskip(SKIP_1) | instid1(VALU_DEP_2)
	v_mul_f32_e32 v13, 0xbfb8aa3b, v11
	v_cmp_nlt_f32_e32 vcc_lo, 0x42ce8ed0, v11
	v_fma_f32 v14, 0xbfb8aa3b, v11, -v13
	v_rndne_f32_e32 v15, v13
	s_delay_alu instid0(VALU_DEP_2) | instskip(NEXT) | instid1(VALU_DEP_2)
	v_fmac_f32_e32 v14, 0xb2a5705f, v11
	v_sub_f32_e32 v13, v13, v15
	s_delay_alu instid0(VALU_DEP_1) | instskip(SKIP_1) | instid1(VALU_DEP_2)
	v_add_f32_e32 v13, v13, v14
	v_cvt_i32_f32_e32 v14, v15
	v_exp_f32_e32 v13, v13
	s_waitcnt_depctr 0xfff
	v_ldexp_f32 v13, v13, v14
	s_delay_alu instid0(VALU_DEP_1) | instskip(SKIP_1) | instid1(VALU_DEP_2)
	v_cndmask_b32_e32 v13, 0, v13, vcc_lo
	v_cmp_ngt_f32_e32 vcc_lo, 0xc2b17218, v11
	v_cndmask_b32_e32 v13, 0x7f800000, v13, vcc_lo
	s_delay_alu instid0(VALU_DEP_1) | instskip(NEXT) | instid1(VALU_DEP_1)
	v_add_f32_e32 v13, 1.0, v13
	v_div_scale_f32 v14, null, v13, v13, v11
	s_delay_alu instid0(VALU_DEP_1) | instskip(SKIP_2) | instid1(VALU_DEP_1)
	v_rcp_f32_e32 v15, v14
	s_waitcnt_depctr 0xfff
	v_fma_f32 v16, -v14, v15, 1.0
	v_fmac_f32_e32 v15, v16, v15
	v_div_scale_f32 v16, vcc_lo, v11, v13, v11
	s_delay_alu instid0(VALU_DEP_1) | instskip(NEXT) | instid1(VALU_DEP_1)
	v_mul_f32_e32 v17, v16, v15
	v_fma_f32 v18, -v14, v17, v16
	s_delay_alu instid0(VALU_DEP_1) | instskip(NEXT) | instid1(VALU_DEP_1)
	v_fmac_f32_e32 v17, v18, v15
	v_fma_f32 v14, -v14, v17, v16
	s_delay_alu instid0(VALU_DEP_1) | instskip(NEXT) | instid1(VALU_DEP_1)
	v_div_fmas_f32 v14, v14, v15, v17
	v_div_fixup_f32 v11, v14, v13, v11
	global_store_b32 v10, v11, s[22:23]
	s_cbranch_scc1 .LBB2_6
; %bb.4:
	s_ashr_i32 s2, s5, 2
	s_delay_alu instid0(SALU_CYCLE_1)
	s_ashr_i32 s3, s2, 31
	s_add_u32 s0, s0, s7
	s_addc_u32 s1, s1, s6
	s_add_u32 s0, s0, s15
	s_addc_u32 s1, s1, s20
	s_add_u32 s4, s12, -1
	s_addc_u32 s5, s13, -1
	s_lshl_b64 s[6:7], s[2:3], 2
	v_add_co_u32 v8, vcc_lo, s0, v8
	s_add_u32 s0, s14, s6
	v_add_co_ci_u32_e32 v9, vcc_lo, s1, v9, vcc_lo
	s_addc_u32 s1, s19, s7
	s_add_u32 s2, s16, s9
	s_addc_u32 s3, s17, s11
	s_add_u32 s0, s2, s0
	v_add_co_u32 v8, vcc_lo, v8, 16
	s_addc_u32 s1, s3, s1
	v_add_co_u32 v10, s0, s0, v10
	v_add_co_ci_u32_e32 v9, vcc_lo, 0, v9, vcc_lo
	v_add_co_ci_u32_e64 v11, null, s1, 0, s0
	s_mov_b64 s[10:11], 0
.LBB2_5:                                ; =>This Inner Loop Header: Depth=1
	global_load_b32 v13, v[8:9], off
	s_add_u32 s8, s10, 1
	s_addc_u32 s9, s11, 0
	s_add_i32 s0, s10, 4
	s_delay_alu instid0(SALU_CYCLE_1) | instskip(NEXT) | instid1(SALU_CYCLE_1)
	s_and_b32 s2, s0, 3
	s_cmp_eq_u32 s2, 3
	s_cselect_b32 vcc_lo, -1, 0
	s_cmp_eq_u32 s2, 2
	s_cselect_b32 s0, -1, 0
	s_cmp_eq_u32 s2, 1
	s_cselect_b32 s1, -1, 0
	;; [unrolled: 2-line block ×3, first 2 shown]
	s_and_b32 s3, s8, 3
	s_delay_alu instid0(SALU_CYCLE_1)
	s_cmp_eq_u32 s3, 1
	s_waitcnt vmcnt(0)
	v_cndmask_b32_e64 v5, v5, v13, s1
	v_cndmask_b32_e64 v4, v4, v13, s2
	;; [unrolled: 1-line block ×3, first 2 shown]
	v_cndmask_b32_e32 v7, v7, v13, vcc_lo
	s_cselect_b32 vcc_lo, -1, 0
	s_cmp_eq_u32 s3, 2
	v_cndmask_b32_e32 v14, v4, v5, vcc_lo
	s_cselect_b32 vcc_lo, -1, 0
	s_cmp_eq_u32 s3, 3
	s_delay_alu instid0(VALU_DEP_1)
	v_cndmask_b32_e32 v14, v14, v6, vcc_lo
	s_cselect_b32 vcc_lo, -1, 0
	s_add_i32 s0, s10, 2
	s_mov_b64 s[10:11], s[8:9]
	s_and_b32 s0, s0, 3
	v_cndmask_b32_e32 v14, v14, v7, vcc_lo
	s_cmp_eq_u32 s0, 1
	s_cselect_b32 vcc_lo, -1, 0
	s_cmp_eq_u32 s0, 2
	v_cndmask_b32_e32 v15, v4, v5, vcc_lo
	s_cselect_b32 vcc_lo, -1, 0
	s_cmp_eq_u32 s0, 3
	v_fma_f32 v14, v0, v14, 0
	s_delay_alu instid0(VALU_DEP_2) | instskip(SKIP_2) | instid1(SALU_CYCLE_1)
	v_cndmask_b32_e32 v15, v15, v6, vcc_lo
	s_cselect_b32 vcc_lo, -1, 0
	s_xor_b32 s1, s3, 2
	s_cmp_eq_u32 s1, 1
	s_cselect_b32 s0, -1, 0
	s_cmp_eq_u32 s1, 2
	v_cndmask_b32_e64 v16, v4, v5, s0
	v_cndmask_b32_e32 v15, v15, v7, vcc_lo
	s_cselect_b32 vcc_lo, -1, 0
	s_cmp_eq_u32 s1, 3
	s_delay_alu instid0(VALU_DEP_2) | instskip(SKIP_3) | instid1(VALU_DEP_2)
	v_cndmask_b32_e32 v16, v16, v6, vcc_lo
	s_cselect_b32 vcc_lo, -1, 0
	v_fmac_f32_e32 v14, v1, v15
	s_cmp_eq_u64 s[4:5], s[8:9]
	v_cndmask_b32_e32 v15, v16, v7, vcc_lo
	s_delay_alu instid0(VALU_DEP_1) | instskip(NEXT) | instid1(VALU_DEP_1)
	v_fmac_f32_e32 v14, v2, v15
	v_fmac_f32_e32 v14, v3, v13
	s_delay_alu instid0(VALU_DEP_1) | instskip(NEXT) | instid1(VALU_DEP_1)
	v_add_f32_e32 v13, v12, v14
	v_mul_f32_e32 v14, 0xbfb8aa3b, v13
	s_delay_alu instid0(VALU_DEP_1) | instskip(SKIP_1) | instid1(VALU_DEP_1)
	v_fma_f32 v15, 0xbfb8aa3b, v13, -v14
	v_rndne_f32_e32 v16, v14
	v_dual_sub_f32 v14, v14, v16 :: v_dual_fmac_f32 v15, 0xb2a5705f, v13
	v_cmp_nlt_f32_e32 vcc_lo, 0x42ce8ed0, v13
	s_delay_alu instid0(VALU_DEP_2) | instskip(SKIP_1) | instid1(VALU_DEP_2)
	v_add_f32_e32 v14, v14, v15
	v_cvt_i32_f32_e32 v15, v16
	v_exp_f32_e32 v14, v14
	s_waitcnt_depctr 0xfff
	v_ldexp_f32 v14, v14, v15
	s_delay_alu instid0(VALU_DEP_1) | instskip(SKIP_1) | instid1(VALU_DEP_2)
	v_cndmask_b32_e32 v14, 0, v14, vcc_lo
	v_cmp_ngt_f32_e32 vcc_lo, 0xc2b17218, v13
	v_cndmask_b32_e32 v14, 0x7f800000, v14, vcc_lo
	v_add_co_u32 v8, vcc_lo, v8, 4
	v_add_co_ci_u32_e32 v9, vcc_lo, 0, v9, vcc_lo
	s_delay_alu instid0(VALU_DEP_3) | instskip(NEXT) | instid1(VALU_DEP_1)
	v_add_f32_e32 v14, 1.0, v14
	v_div_scale_f32 v15, null, v14, v14, v13
	v_div_scale_f32 v17, vcc_lo, v13, v14, v13
	s_delay_alu instid0(VALU_DEP_2) | instskip(SKIP_2) | instid1(VALU_DEP_1)
	v_rcp_f32_e32 v16, v15
	s_waitcnt_depctr 0xfff
	v_fma_f32 v18, -v15, v16, 1.0
	v_fmac_f32_e32 v16, v18, v16
	s_delay_alu instid0(VALU_DEP_1) | instskip(NEXT) | instid1(VALU_DEP_1)
	v_mul_f32_e32 v18, v17, v16
	v_fma_f32 v19, -v15, v18, v17
	s_delay_alu instid0(VALU_DEP_1) | instskip(NEXT) | instid1(VALU_DEP_1)
	v_fmac_f32_e32 v18, v19, v16
	v_fma_f32 v15, -v15, v18, v17
	s_delay_alu instid0(VALU_DEP_1) | instskip(NEXT) | instid1(VALU_DEP_1)
	v_div_fmas_f32 v15, v15, v16, v18
	v_div_fixup_f32 v13, v15, v14, v13
	global_store_b32 v[10:11], v13, off
	v_add_co_u32 v10, vcc_lo, v10, s6
	v_add_co_ci_u32_e32 v11, vcc_lo, s7, v11, vcc_lo
	s_cbranch_scc0 .LBB2_5
.LBB2_6:
	s_nop 0
	s_sendmsg sendmsg(MSG_DEALLOC_VGPRS)
	s_endpgm
	.section	.rodata,"a",@progbits
	.p2align	6, 0x0
	.amdhsa_kernel _ZL12ssm_conv_f32ILb1ELm128ELm4EEvPKfS1_S1_iiiiPfiiil
		.amdhsa_group_segment_fixed_size 0
		.amdhsa_private_segment_fixed_size 0
		.amdhsa_kernarg_size 72
		.amdhsa_user_sgpr_count 14
		.amdhsa_user_sgpr_dispatch_ptr 0
		.amdhsa_user_sgpr_queue_ptr 0
		.amdhsa_user_sgpr_kernarg_segment_ptr 1
		.amdhsa_user_sgpr_dispatch_id 0
		.amdhsa_user_sgpr_private_segment_size 0
		.amdhsa_wavefront_size32 1
		.amdhsa_uses_dynamic_stack 0
		.amdhsa_enable_private_segment 0
		.amdhsa_system_sgpr_workgroup_id_x 1
		.amdhsa_system_sgpr_workgroup_id_y 1
		.amdhsa_system_sgpr_workgroup_id_z 0
		.amdhsa_system_sgpr_workgroup_info 0
		.amdhsa_system_vgpr_workitem_id 0
		.amdhsa_next_free_vgpr 20
		.amdhsa_next_free_sgpr 27
		.amdhsa_reserve_vcc 1
		.amdhsa_float_round_mode_32 0
		.amdhsa_float_round_mode_16_64 0
		.amdhsa_float_denorm_mode_32 3
		.amdhsa_float_denorm_mode_16_64 3
		.amdhsa_dx10_clamp 1
		.amdhsa_ieee_mode 1
		.amdhsa_fp16_overflow 0
		.amdhsa_workgroup_processor_mode 1
		.amdhsa_memory_ordered 1
		.amdhsa_forward_progress 0
		.amdhsa_shared_vgpr_count 0
		.amdhsa_exception_fp_ieee_invalid_op 0
		.amdhsa_exception_fp_denorm_src 0
		.amdhsa_exception_fp_ieee_div_zero 0
		.amdhsa_exception_fp_ieee_overflow 0
		.amdhsa_exception_fp_ieee_underflow 0
		.amdhsa_exception_fp_ieee_inexact 0
		.amdhsa_exception_int_div_zero 0
	.end_amdhsa_kernel
	.section	.text._ZL12ssm_conv_f32ILb1ELm128ELm4EEvPKfS1_S1_iiiiPfiiil,"axG",@progbits,_ZL12ssm_conv_f32ILb1ELm128ELm4EEvPKfS1_S1_iiiiPfiiil,comdat
.Lfunc_end2:
	.size	_ZL12ssm_conv_f32ILb1ELm128ELm4EEvPKfS1_S1_iiiiPfiiil, .Lfunc_end2-_ZL12ssm_conv_f32ILb1ELm128ELm4EEvPKfS1_S1_iiiiPfiiil
                                        ; -- End function
	.section	.AMDGPU.csdata,"",@progbits
; Kernel info:
; codeLenInByte = 1320
; NumSgprs: 29
; NumVgprs: 20
; ScratchSize: 0
; MemoryBound: 0
; FloatMode: 240
; IeeeMode: 1
; LDSByteSize: 0 bytes/workgroup (compile time only)
; SGPRBlocks: 3
; VGPRBlocks: 2
; NumSGPRsForWavesPerEU: 29
; NumVGPRsForWavesPerEU: 20
; Occupancy: 16
; WaveLimiterHint : 0
; COMPUTE_PGM_RSRC2:SCRATCH_EN: 0
; COMPUTE_PGM_RSRC2:USER_SGPR: 14
; COMPUTE_PGM_RSRC2:TRAP_HANDLER: 0
; COMPUTE_PGM_RSRC2:TGID_X_EN: 1
; COMPUTE_PGM_RSRC2:TGID_Y_EN: 1
; COMPUTE_PGM_RSRC2:TGID_Z_EN: 0
; COMPUTE_PGM_RSRC2:TIDIG_COMP_CNT: 0
	.section	.text._ZL23ssm_conv_long_token_f32ILb1ELm128ELm4ELl32EEvPKfS1_S1_iiiiPfiiil,"axG",@progbits,_ZL23ssm_conv_long_token_f32ILb1ELm128ELm4ELl32EEvPKfS1_S1_iiiiPfiiil,comdat
	.globl	_ZL23ssm_conv_long_token_f32ILb1ELm128ELm4ELl32EEvPKfS1_S1_iiiiPfiiil ; -- Begin function _ZL23ssm_conv_long_token_f32ILb1ELm128ELm4ELl32EEvPKfS1_S1_iiiiPfiiil
	.p2align	8
	.type	_ZL23ssm_conv_long_token_f32ILb1ELm128ELm4ELl32EEvPKfS1_S1_iiiiPfiiil,@function
_ZL23ssm_conv_long_token_f32ILb1ELm128ELm4ELl32EEvPKfS1_S1_iiiiPfiiil: ; @_ZL23ssm_conv_long_token_f32ILb1ELm128ELm4ELl32EEvPKfS1_S1_iiiiPfiiil
; %bb.0:
	v_mul_u32_u24_e32 v1, 0x751, v0
	s_clause 0x1
	s_load_b128 s[4:7], s[0:1], 0x18
	s_load_b64 s[2:3], s[0:1], 0x0
	s_mov_b32 s8, s15
	v_lshrrev_b32_e32 v14, 16, v1
	s_delay_alu instid0(VALU_DEP_1) | instskip(NEXT) | instid1(VALU_DEP_1)
	v_mul_lo_u16 v1, v14, 35
	v_sub_nc_u16 v12, v0, v1
	s_delay_alu instid0(VALU_DEP_1) | instskip(SKIP_2) | instid1(SALU_CYCLE_1)
	v_or_b32_e32 v1, 0x80, v12
	s_waitcnt lgkmcnt(0)
	s_mul_i32 s6, s13, s6
	s_ashr_i32 s9, s6, 31
	s_add_u32 s10, s2, s6
	v_mul_lo_u16 v2, 0xeb, v1
	s_addc_u32 s11, s3, s9
	s_ashr_i32 s6, s5, 2
	s_ashr_i32 s15, s14, 31
	;; [unrolled: 1-line block ×3, first 2 shown]
	v_lshrrev_b16 v17, 13, v2
	v_alignbit_b32 v18, s15, s14, 25
	s_ashr_i32 s9, s8, 31
	s_lshl_b64 s[2:3], s[14:15], 7
	s_lshl_b64 s[14:15], s[8:9], 5
	v_mul_lo_u16 v2, v17, 35
	v_mul_lo_u32 v18, v18, s5
	v_alignbit_b32 v20, s9, s8, 27
	s_mul_i32 s8, s2, s12
	s_mul_hi_u32 s9, s2, s5
	v_sub_nc_u16 v1, v1, v2
	s_add_i32 s9, s9, s8
	v_and_b32_e32 v22, 0xffff, v17
	v_mul_lo_u32 v20, v20, s4
	v_add_nc_u32_e32 v23, s9, v18
	v_and_b32_e32 v1, 0xff, v1
	s_ashr_i32 s16, s4, 31
	v_add_nc_u32_e32 v44, v14, v22
	s_mul_i32 s12, s2, s5
	s_mul_i32 s16, s14, s16
	v_or_b32_e32 v2, 0x80, v1
	s_mul_hi_u32 s17, s14, s4
	v_add_co_u32 v22, vcc_lo, s10, s12
	s_add_i32 s17, s17, s16
	s_delay_alu instid0(VALU_DEP_2) | instskip(SKIP_3) | instid1(VALU_DEP_3)
	v_mul_lo_u16 v3, 0xeb, v2
	v_add_nc_u32_e32 v28, s17, v20
	v_add_co_ci_u32_e32 v23, vcc_lo, s11, v23, vcc_lo
	s_mul_i32 s5, s14, s4
	v_lshrrev_b16 v19, 13, v3
	s_mov_b32 s4, exec_lo
	s_delay_alu instid0(VALU_DEP_1) | instskip(NEXT) | instid1(VALU_DEP_1)
	v_mul_lo_u16 v3, v19, 35
	v_sub_nc_u16 v2, v2, v3
	s_delay_alu instid0(VALU_DEP_1) | instskip(NEXT) | instid1(VALU_DEP_1)
	v_and_b32_e32 v2, 0xff, v2
	v_or_b32_e32 v3, 0x80, v2
	s_delay_alu instid0(VALU_DEP_1) | instskip(NEXT) | instid1(VALU_DEP_1)
	v_mul_lo_u16 v4, 0xeb, v3
	v_lshrrev_b16 v24, 13, v4
	s_delay_alu instid0(VALU_DEP_1) | instskip(NEXT) | instid1(VALU_DEP_1)
	v_mul_lo_u16 v4, v24, 35
	v_sub_nc_u16 v3, v3, v4
	s_delay_alu instid0(VALU_DEP_1) | instskip(NEXT) | instid1(VALU_DEP_1)
	v_and_b32_e32 v3, 0xff, v3
	v_or_b32_e32 v4, 0x80, v3
	s_delay_alu instid0(VALU_DEP_1) | instskip(NEXT) | instid1(VALU_DEP_1)
	v_mul_lo_u16 v5, 0xeb, v4
	v_lshrrev_b16 v25, 13, v5
	;; [unrolled: 9-line block ×3, first 2 shown]
	s_delay_alu instid0(VALU_DEP_1) | instskip(SKIP_1) | instid1(VALU_DEP_2)
	v_mul_lo_u16 v6, v26, 35
	v_and_b32_e32 v26, 0xffff, v26
	v_sub_nc_u16 v5, v5, v6
	s_delay_alu instid0(VALU_DEP_1) | instskip(NEXT) | instid1(VALU_DEP_1)
	v_and_b32_e32 v5, 0xff, v5
	v_or_b32_e32 v6, 0x80, v5
	s_delay_alu instid0(VALU_DEP_1) | instskip(NEXT) | instid1(VALU_DEP_1)
	v_mul_lo_u16 v7, 0xeb, v6
	v_lshrrev_b16 v31, 13, v7
	s_delay_alu instid0(VALU_DEP_1) | instskip(NEXT) | instid1(VALU_DEP_1)
	v_mul_lo_u16 v7, v31, 35
	v_sub_nc_u16 v6, v6, v7
	s_delay_alu instid0(VALU_DEP_1) | instskip(NEXT) | instid1(VALU_DEP_1)
	v_and_b32_e32 v6, 0xff, v6
	v_or_b32_e32 v7, 0x80, v6
	s_delay_alu instid0(VALU_DEP_1) | instskip(NEXT) | instid1(VALU_DEP_1)
	v_mul_lo_u16 v8, 0xeb, v7
	v_lshrrev_b16 v33, 13, v8
	s_delay_alu instid0(VALU_DEP_1) | instskip(NEXT) | instid1(VALU_DEP_1)
	v_mul_lo_u16 v8, v33, 35
	v_sub_nc_u16 v7, v7, v8
	s_delay_alu instid0(VALU_DEP_1) | instskip(NEXT) | instid1(VALU_DEP_1)
	v_and_b32_e32 v7, 0xff, v7
	v_or_b32_e32 v8, 0x80, v7
	s_delay_alu instid0(VALU_DEP_1) | instskip(NEXT) | instid1(VALU_DEP_1)
	v_mul_lo_u16 v9, 0xeb, v8
	v_lshrrev_b16 v36, 13, v9
	s_delay_alu instid0(VALU_DEP_1) | instskip(SKIP_1) | instid1(VALU_DEP_2)
	v_mul_lo_u16 v9, v36, 35
	v_and_b32_e32 v36, 0xffff, v36
	v_sub_nc_u16 v8, v8, v9
	s_delay_alu instid0(VALU_DEP_1) | instskip(NEXT) | instid1(VALU_DEP_1)
	v_and_b32_e32 v8, 0xff, v8
	v_or_b32_e32 v9, 0x80, v8
	s_delay_alu instid0(VALU_DEP_1) | instskip(NEXT) | instid1(VALU_DEP_1)
	v_mul_lo_u16 v10, 0xeb, v9
	v_lshrrev_b16 v37, 13, v10
	s_delay_alu instid0(VALU_DEP_1) | instskip(NEXT) | instid1(VALU_DEP_1)
	v_mul_lo_u16 v10, v37, 35
	v_sub_nc_u16 v9, v9, v10
	s_delay_alu instid0(VALU_DEP_1) | instskip(NEXT) | instid1(VALU_DEP_1)
	v_and_b32_e32 v9, 0xff, v9
	v_or_b32_e32 v10, 0x80, v9
	s_delay_alu instid0(VALU_DEP_1) | instskip(NEXT) | instid1(VALU_DEP_1)
	v_mul_lo_u16 v11, 0xeb, v10
	v_lshrrev_b16 v40, 13, v11
	s_delay_alu instid0(VALU_DEP_1) | instskip(NEXT) | instid1(VALU_DEP_1)
	v_mul_lo_u16 v11, v40, 35
	;; [unrolled: 9-line block ×3, first 2 shown]
	v_sub_nc_u16 v11, v11, v13
	s_delay_alu instid0(VALU_DEP_1) | instskip(NEXT) | instid1(VALU_DEP_1)
	v_and_b32_e32 v11, 0xff, v11
	v_or_b32_e32 v13, 0x80, v11
	s_delay_alu instid0(VALU_DEP_1) | instskip(NEXT) | instid1(VALU_DEP_1)
	v_mul_lo_u16 v15, 0xeb, v13
	v_lshrrev_b16 v42, 13, v15
	v_and_b32_e32 v15, 0xffff, v12
	s_delay_alu instid0(VALU_DEP_2) | instskip(NEXT) | instid1(VALU_DEP_1)
	v_mul_lo_u16 v12, v42, 35
	v_sub_nc_u16 v12, v13, v12
	s_delay_alu instid0(VALU_DEP_1) | instskip(NEXT) | instid1(VALU_DEP_1)
	v_and_b32_e32 v16, 0xff, v12
	v_or_b32_e32 v21, 0x80, v16
	v_mad_u64_u32 v[12:13], null, s6, v14, v[15:16]
	v_mad_u32_u24 v14, v14, 35, v15
	s_delay_alu instid0(VALU_DEP_3) | instskip(NEXT) | instid1(VALU_DEP_2)
	v_mul_lo_u16 v13, 0xeb, v21
	v_lshl_add_u32 v14, v14, 2, 0
	s_delay_alu instid0(VALU_DEP_2) | instskip(SKIP_1) | instid1(VALU_DEP_2)
	v_lshrrev_b16 v43, 13, v13
	v_ashrrev_i32_e32 v13, 31, v12
	v_mul_lo_u16 v27, v43, 35
	s_delay_alu instid0(VALU_DEP_2) | instskip(SKIP_2) | instid1(VALU_DEP_4)
	v_lshlrev_b64 v[17:18], 2, v[12:13]
	v_and_b32_e32 v12, 0xffff, v19
	v_mad_u64_u32 v[19:20], null, v44, s6, v[1:2]
	v_sub_nc_u16 v13, v21, v27
	v_mad_u32_u24 v1, v44, 35, v1
	s_delay_alu instid0(VALU_DEP_4) | instskip(SKIP_1) | instid1(VALU_DEP_4)
	v_add_nc_u32_e32 v45, v44, v12
	v_add_co_u32 v12, vcc_lo, v22, s5
	v_and_b32_e32 v21, 0xff, v13
	v_add_co_ci_u32_e32 v13, vcc_lo, v23, v28, vcc_lo
	s_delay_alu instid0(VALU_DEP_4) | instskip(NEXT) | instid1(VALU_DEP_3)
	v_mad_u64_u32 v[22:23], null, v45, s6, v[2:3]
	v_or_b32_e32 v27, 0x80, v21
	v_and_b32_e32 v23, 0xffff, v24
	v_and_b32_e32 v28, 0xffff, v25
	v_ashrrev_i32_e32 v20, 31, v19
	v_add_co_u32 v17, vcc_lo, v12, v17
	v_mul_lo_u16 v24, 0xeb, v27
	v_add_nc_u32_e32 v47, v45, v23
	v_ashrrev_i32_e32 v23, 31, v22
	v_lshlrev_b64 v[19:20], 2, v[19:20]
	v_add_co_ci_u32_e32 v18, vcc_lo, v13, v18, vcc_lo
	v_lshrrev_b16 v46, 13, v24
	v_add_nc_u32_e32 v48, v47, v28
	v_mad_u64_u32 v[24:25], null, v47, s6, v[3:4]
	v_lshlrev_b64 v[22:23], 2, v[22:23]
	s_delay_alu instid0(VALU_DEP_4) | instskip(NEXT) | instid1(VALU_DEP_4)
	v_mul_lo_u16 v29, v46, 35
	v_add_nc_u32_e32 v49, v48, v26
	v_add_co_u32 v19, vcc_lo, v12, v19
	v_add_co_ci_u32_e32 v20, vcc_lo, v13, v20, vcc_lo
	s_delay_alu instid0(VALU_DEP_4) | instskip(NEXT) | instid1(VALU_DEP_4)
	v_sub_nc_u16 v27, v27, v29
	v_mad_u64_u32 v[29:30], null, v49, s6, v[5:6]
	v_ashrrev_i32_e32 v25, 31, v24
	v_add_co_u32 v22, vcc_lo, v12, v22
	s_delay_alu instid0(VALU_DEP_4) | instskip(SKIP_3) | instid1(VALU_DEP_4)
	v_and_b32_e32 v26, 0xff, v27
	v_mad_u64_u32 v[27:28], null, v48, s6, v[4:5]
	v_and_b32_e32 v28, 0xffff, v31
	v_lshlrev_b64 v[24:25], 2, v[24:25]
	v_or_b32_e32 v35, 0x80, v26
	v_ashrrev_i32_e32 v30, 31, v29
	v_add_co_ci_u32_e32 v23, vcc_lo, v13, v23, vcc_lo
	v_add_nc_u32_e32 v50, v49, v28
	s_delay_alu instid0(VALU_DEP_4) | instskip(SKIP_2) | instid1(VALU_DEP_4)
	v_mul_lo_u16 v34, 0xeb, v35
	v_ashrrev_i32_e32 v28, 31, v27
	v_add_co_u32 v24, vcc_lo, v12, v24
	v_mad_u64_u32 v[31:32], null, v50, s6, v[6:7]
	v_and_b32_e32 v32, 0xffff, v33
	v_lshrrev_b16 v51, 13, v34
	v_lshlrev_b64 v[27:28], 2, v[27:28]
	v_lshlrev_b64 v[29:30], 2, v[29:30]
	v_add_co_ci_u32_e32 v25, vcc_lo, v13, v25, vcc_lo
	v_add_nc_u32_e32 v52, v50, v32
	v_mul_lo_u16 v38, v51, 35
	v_ashrrev_i32_e32 v32, 31, v31
	v_add_co_u32 v27, vcc_lo, v12, v27
	s_delay_alu instid0(VALU_DEP_4) | instskip(NEXT) | instid1(VALU_DEP_4)
	v_mad_u64_u32 v[33:34], null, v52, s6, v[7:8]
	v_sub_nc_u16 v34, v35, v38
	v_add_nc_u32_e32 v54, v52, v36
	v_and_b32_e32 v38, 0xffff, v37
	v_lshlrev_b64 v[31:32], 2, v[31:32]
	v_add_co_ci_u32_e32 v28, vcc_lo, v13, v28, vcc_lo
	v_and_b32_e32 v35, 0xff, v34
	s_delay_alu instid0(VALU_DEP_4) | instskip(SKIP_2) | instid1(VALU_DEP_4)
	v_add_nc_u32_e32 v55, v54, v38
	v_ashrrev_i32_e32 v34, 31, v33
	v_mad_u64_u32 v[36:37], null, v54, s6, v[8:9]
	v_or_b32_e32 v53, 0x80, v35
	v_add_co_u32 v29, vcc_lo, v12, v29
	s_delay_alu instid0(VALU_DEP_4) | instskip(SKIP_1) | instid1(VALU_DEP_4)
	v_lshlrev_b64 v[33:34], 2, v[33:34]
	v_add_co_ci_u32_e32 v30, vcc_lo, v13, v30, vcc_lo
	v_mul_lo_u16 v39, 0xeb, v53
	v_add_co_u32 v31, vcc_lo, v12, v31
	v_ashrrev_i32_e32 v37, 31, v36
	v_add_co_ci_u32_e32 v32, vcc_lo, v13, v32, vcc_lo
	s_delay_alu instid0(VALU_DEP_4) | instskip(SKIP_3) | instid1(VALU_DEP_4)
	v_lshrrev_b16 v56, 13, v39
	v_mad_u64_u32 v[38:39], null, v55, s6, v[9:10]
	v_and_b32_e32 v39, 0xffff, v40
	v_add_co_u32 v33, vcc_lo, v12, v33
	v_mul_lo_u16 v57, v56, 35
	v_add_co_ci_u32_e32 v34, vcc_lo, v13, v34, vcc_lo
	s_delay_alu instid0(VALU_DEP_4) | instskip(SKIP_1) | instid1(VALU_DEP_4)
	v_add_nc_u32_e32 v64, v55, v39
	v_ashrrev_i32_e32 v39, 31, v38
	v_sub_nc_u16 v40, v53, v57
	s_clause 0x7
	global_load_b32 v53, v[17:18], off
	global_load_b32 v57, v[19:20], off
	;; [unrolled: 1-line block ×8, first 2 shown]
	v_lshlrev_b64 v[17:18], 2, v[36:37]
	v_and_b32_e32 v20, 0xffff, v41
	v_lshlrev_b64 v[24:25], 2, v[38:39]
	v_and_b32_e32 v19, 0xff, v40
	v_mad_u64_u32 v[22:23], null, v64, s6, v[10:11]
	v_add_co_u32 v17, vcc_lo, v12, v17
	v_add_co_ci_u32_e32 v18, vcc_lo, v13, v18, vcc_lo
	v_add_co_u32 v24, vcc_lo, v12, v24
	v_add_co_ci_u32_e32 v25, vcc_lo, v13, v25, vcc_lo
	s_clause 0x1
	global_load_b32 v71, v[17:18], off
	global_load_b32 v25, v[24:25], off
	v_or_b32_e32 v29, 0x80, v19
	v_add_nc_u32_e32 v65, v64, v20
	v_and_b32_e32 v20, 0xffff, v42
	v_ashrrev_i32_e32 v23, 31, v22
	v_and_b32_e32 v40, 0xffff, v56
	v_mul_lo_u16 v27, 0xeb, v29
	v_mad_u32_u24 v15, v45, 35, v2
	v_add_nc_u32_e32 v66, v65, v20
	v_and_b32_e32 v20, 0xffff, v43
	v_lshlrev_b64 v[22:23], 2, v[22:23]
	v_lshrrev_b16 v39, 13, v27
	v_mad_u64_u32 v[27:28], null, v65, s6, v[11:12]
	s_delay_alu instid0(VALU_DEP_4) | instskip(SKIP_1) | instid1(VALU_DEP_4)
	v_add_nc_u32_e32 v43, v66, v20
	v_mad_u32_u24 v3, v47, 35, v3
	v_mul_lo_u16 v30, v39, 35
	v_and_b32_e32 v41, 0xffff, v39
	s_delay_alu instid0(VALU_DEP_4) | instskip(NEXT) | instid1(VALU_DEP_3)
	v_mad_u64_u32 v[31:32], null, v43, s6, v[21:22]
	v_sub_nc_u16 v20, v29, v30
	v_ashrrev_i32_e32 v28, 31, v27
	v_mad_u64_u32 v[29:30], null, v66, s6, v[16:17]
	v_and_b32_e32 v30, 0xffff, v46
	s_delay_alu instid0(VALU_DEP_4) | instskip(NEXT) | instid1(VALU_DEP_4)
	v_and_b32_e32 v20, 0xff, v20
	v_lshlrev_b64 v[27:28], 2, v[27:28]
	v_ashrrev_i32_e32 v32, 31, v31
	v_add_co_u32 v22, vcc_lo, v12, v22
	v_add_nc_u32_e32 v46, v43, v30
	v_or_b32_e32 v38, 0x80, v20
	v_ashrrev_i32_e32 v30, 31, v29
	v_add_co_ci_u32_e32 v23, vcc_lo, v13, v23, vcc_lo
	s_delay_alu instid0(VALU_DEP_4) | instskip(SKIP_4) | instid1(VALU_DEP_4)
	v_mad_u64_u32 v[33:34], null, v46, s6, v[26:27]
	v_and_b32_e32 v34, 0xffff, v51
	v_mul_lo_u16 v36, 0xeb, v38
	v_lshlrev_b64 v[29:30], 2, v[29:30]
	v_add_co_u32 v27, vcc_lo, v12, v27
	v_add_nc_u32_e32 v51, v46, v34
	s_delay_alu instid0(VALU_DEP_4)
	v_lshrrev_b16 v67, 13, v36
	v_ashrrev_i32_e32 v34, 31, v33
	v_lshlrev_b64 v[31:32], 2, v[31:32]
	v_add_co_ci_u32_e32 v28, vcc_lo, v13, v28, vcc_lo
	v_mad_u64_u32 v[36:37], null, v51, s6, v[35:36]
	v_mul_lo_u16 v37, v67, 35
	v_add_nc_u32_e32 v56, v51, v40
	v_add_co_u32 v29, vcc_lo, v12, v29
	v_lshlrev_b64 v[33:34], 2, v[33:34]
	s_delay_alu instid0(VALU_DEP_4) | instskip(NEXT) | instid1(VALU_DEP_4)
	v_sub_nc_u16 v38, v38, v37
	v_mad_u64_u32 v[39:40], null, v56, s6, v[19:20]
	v_add_nc_u32_e32 v69, v56, v41
	v_ashrrev_i32_e32 v37, 31, v36
	s_delay_alu instid0(VALU_DEP_4) | instskip(SKIP_1) | instid1(VALU_DEP_4)
	v_and_b32_e32 v38, 0xff, v38
	v_add_co_ci_u32_e32 v30, vcc_lo, v13, v30, vcc_lo
	v_mad_u64_u32 v[41:42], null, v69, s6, v[20:21]
	s_delay_alu instid0(VALU_DEP_3) | instskip(SKIP_3) | instid1(VALU_DEP_4)
	v_or_b32_e32 v68, 0x80, v38
	v_and_b32_e32 v42, 0xffff, v67
	v_add_co_u32 v31, vcc_lo, v12, v31
	v_lshlrev_b64 v[36:37], 2, v[36:37]
	v_mul_lo_u16 v40, 0xeb, v68
	s_delay_alu instid0(VALU_DEP_4) | instskip(SKIP_2) | instid1(VALU_DEP_4)
	v_add_nc_u32_e32 v72, v69, v42
	v_add_co_ci_u32_e32 v32, vcc_lo, v13, v32, vcc_lo
	v_add_co_u32 v33, vcc_lo, v12, v33
	v_lshrrev_b16 v70, 13, v40
	v_add_co_ci_u32_e32 v34, vcc_lo, v13, v34, vcc_lo
	v_mad_u64_u32 v[17:18], null, v72, s6, v[38:39]
	s_delay_alu instid0(VALU_DEP_3) | instskip(SKIP_3) | instid1(VALU_DEP_4)
	v_mul_lo_u16 v67, v70, 35
	v_and_b32_e32 v24, 0xffff, v70
	v_add_co_u32 v36, vcc_lo, v12, v36
	v_ashrrev_i32_e32 v40, 31, v39
	v_sub_nc_u16 v67, v68, v67
	s_delay_alu instid0(VALU_DEP_4) | instskip(SKIP_2) | instid1(VALU_DEP_4)
	v_add_nc_u32_e32 v68, v72, v24
	v_add_co_ci_u32_e32 v37, vcc_lo, v13, v37, vcc_lo
	v_ashrrev_i32_e32 v42, 31, v41
	v_and_b32_e32 v24, 0xff, v67
	s_clause 0x5
	global_load_b32 v67, v[22:23], off
	global_load_b32 v70, v[27:28], off
	;; [unrolled: 1-line block ×6, first 2 shown]
	v_lshlrev_b64 v[22:23], 2, v[39:40]
	v_ashrrev_i32_e32 v18, 31, v17
	v_lshlrev_b64 v[29:30], 2, v[41:42]
	s_delay_alu instid0(VALU_DEP_3) | instskip(NEXT) | instid1(VALU_DEP_3)
	v_add_co_u32 v22, vcc_lo, v12, v22
	v_lshlrev_b64 v[17:18], 2, v[17:18]
	v_add_co_ci_u32_e32 v23, vcc_lo, v13, v23, vcc_lo
	s_delay_alu instid0(VALU_DEP_4) | instskip(SKIP_1) | instid1(VALU_DEP_4)
	v_add_co_u32 v29, vcc_lo, v12, v29
	v_add_co_ci_u32_e32 v30, vcc_lo, v13, v30, vcc_lo
	v_add_co_u32 v17, vcc_lo, v12, v17
	v_add_co_ci_u32_e32 v18, vcc_lo, v13, v18, vcc_lo
	s_waitcnt vmcnt(6)
	v_mad_u64_u32 v[27:28], null, v68, s6, v[24:25]
	s_delay_alu instid0(VALU_DEP_1) | instskip(NEXT) | instid1(VALU_DEP_1)
	v_ashrrev_i32_e32 v28, 31, v27
	v_lshlrev_b64 v[27:28], 2, v[27:28]
	s_delay_alu instid0(VALU_DEP_1) | instskip(NEXT) | instid1(VALU_DEP_2)
	v_add_co_u32 v27, vcc_lo, v12, v27
	v_add_co_ci_u32_e32 v28, vcc_lo, v13, v28, vcc_lo
	s_clause 0x3
	global_load_b32 v22, v[22:23], off
	global_load_b32 v23, v[29:30], off
	;; [unrolled: 1-line block ×4, first 2 shown]
	ds_store_b32 v14, v53
	v_lshl_add_u32 v14, v1, 2, 0
	v_mad_u64_u32 v[1:2], null, v50, 35, v[6:7]
	v_mad_u32_u24 v2, v48, 35, v4
	v_mad_u32_u24 v4, v49, 35, v5
	ds_store_b32 v14, v57
	v_lshl_add_u32 v6, v3, 2, 0
	v_lshl_add_u32 v5, v15, 2, 0
	;; [unrolled: 1-line block ×4, first 2 shown]
	v_mad_u64_u32 v[1:2], null, v52, 35, v[7:8]
	v_mad_u64_u32 v[2:3], null, v54, 35, v[8:9]
	v_lshl_add_u32 v15, v4, 2, 0
	v_mad_u64_u32 v[3:4], null, v55, 35, v[9:10]
	ds_store_b32 v5, v58
	ds_store_b32 v6, v59
	;; [unrolled: 1-line block ×5, first 2 shown]
	v_lshl_add_u32 v5, v1, 2, 0
	v_or_b32_e32 v8, 0x80, v24
	v_lshl_add_u32 v6, v2, 2, 0
	v_mad_u64_u32 v[1:2], null, v64, 35, v[10:11]
	v_lshl_add_u32 v7, v3, 2, 0
	v_mad_u64_u32 v[2:3], null, v65, 35, v[11:12]
	ds_store_b32 v5, v63
	ds_store_b32 v6, v71
	;; [unrolled: 1-line block ×3, first 2 shown]
	v_lshl_add_u32 v6, v2, 2, 0
	s_waitcnt vmcnt(1)
	v_mad_u64_u32 v[3:4], null, v66, 35, v[16:17]
	v_mad_u64_u32 v[4:5], null, v43, 35, v[21:22]
	v_lshl_add_u32 v5, v1, 2, 0
	v_mad_u64_u32 v[1:2], null, v46, 35, v[26:27]
	ds_store_b32 v5, v67
	ds_store_b32 v6, v70
	v_lshl_add_u32 v7, v3, 2, 0
	v_mad_u64_u32 v[2:3], null, v51, 35, v[35:36]
	v_lshl_add_u32 v3, v4, 2, 0
	v_mul_lo_u16 v5, 0xeb, v8
	ds_store_b32 v7, v73
	ds_store_b32 v3, v31
	v_lshl_add_u32 v7, v1, 2, 0
	v_lshl_add_u32 v9, v2, 2, 0
	v_mad_u64_u32 v[1:2], null, v56, 35, v[19:20]
	v_lshrrev_b16 v2, 13, v5
	v_mad_u64_u32 v[3:4], null, v69, 35, v[20:21]
	v_mad_u64_u32 v[4:5], null, v72, 35, v[38:39]
	;; [unrolled: 1-line block ×3, first 2 shown]
	s_delay_alu instid0(VALU_DEP_4)
	v_mul_lo_u16 v6, v2, 35
	v_and_b32_e32 v2, 0xffff, v2
	ds_store_b32 v7, v32
	ds_store_b32 v9, v33
	v_lshl_add_u32 v7, v1, 2, 0
	v_lshl_add_u32 v3, v3, 2, 0
	v_sub_nc_u16 v1, v8, v6
	v_add_nc_u32_e32 v2, v68, v2
	v_lshl_add_u32 v4, v4, 2, 0
	v_lshl_add_u32 v5, v5, 2, 0
	ds_store_b32 v7, v22
	ds_store_b32 v3, v23
	;; [unrolled: 1-line block ×3, first 2 shown]
	s_waitcnt vmcnt(0)
	ds_store_b32 v5, v18
	v_and_b32_e32 v1, 0xff, v1
	v_cmpx_gt_u32_e32 0x80, v2
	s_cbranch_execz .LBB3_2
; %bb.1:
	s_delay_alu instid0(VALU_DEP_2) | instskip(NEXT) | instid1(VALU_DEP_1)
	v_mad_u64_u32 v[3:4], null, v2, s6, v[1:2]
	v_ashrrev_i32_e32 v4, 31, v3
	s_delay_alu instid0(VALU_DEP_1) | instskip(NEXT) | instid1(VALU_DEP_1)
	v_lshlrev_b64 v[3:4], 2, v[3:4]
	v_add_co_u32 v3, vcc_lo, v12, v3
	s_delay_alu instid0(VALU_DEP_2) | instskip(SKIP_2) | instid1(VALU_DEP_1)
	v_add_co_ci_u32_e32 v4, vcc_lo, v13, v4, vcc_lo
	global_load_b32 v5, v[3:4], off
	v_mad_u64_u32 v[3:4], null, v2, 35, v[1:2]
	v_lshl_add_u32 v3, v3, 2, 0
	s_waitcnt vmcnt(0)
	ds_store_b32 v3, v5
.LBB3_2:
	s_or_b32 exec_lo, exec_lo, s4
	s_delay_alu instid0(VALU_DEP_2) | instskip(SKIP_1) | instid1(VALU_DEP_1)
	v_or_b32_e32 v1, 0x80, v1
	s_mov_b32 s4, exec_lo
	v_mul_lo_u16 v3, 0xeb, v1
	s_delay_alu instid0(VALU_DEP_1) | instskip(NEXT) | instid1(VALU_DEP_1)
	v_lshrrev_b16 v3, 13, v3
	v_mul_lo_u16 v4, v3, 35
	v_and_b32_e32 v3, 0xffff, v3
	s_delay_alu instid0(VALU_DEP_2) | instskip(NEXT) | instid1(VALU_DEP_2)
	v_sub_nc_u16 v1, v1, v4
	v_add_nc_u32_e32 v2, v2, v3
	s_delay_alu instid0(VALU_DEP_2) | instskip(NEXT) | instid1(VALU_DEP_2)
	v_and_b32_e32 v1, 0xff, v1
	v_cmpx_gt_u32_e32 0x80, v2
	s_cbranch_execz .LBB3_4
; %bb.3:
	s_delay_alu instid0(VALU_DEP_2) | instskip(NEXT) | instid1(VALU_DEP_1)
	v_mad_u64_u32 v[3:4], null, v2, s6, v[1:2]
	v_ashrrev_i32_e32 v4, 31, v3
	s_delay_alu instid0(VALU_DEP_1) | instskip(NEXT) | instid1(VALU_DEP_1)
	v_lshlrev_b64 v[3:4], 2, v[3:4]
	v_add_co_u32 v3, vcc_lo, v12, v3
	s_delay_alu instid0(VALU_DEP_2) | instskip(SKIP_2) | instid1(VALU_DEP_1)
	v_add_co_ci_u32_e32 v4, vcc_lo, v13, v4, vcc_lo
	global_load_b32 v5, v[3:4], off
	v_mad_u64_u32 v[3:4], null, v2, 35, v[1:2]
	v_lshl_add_u32 v3, v3, 2, 0
	s_waitcnt vmcnt(0)
	ds_store_b32 v3, v5
.LBB3_4:
	s_or_b32 exec_lo, exec_lo, s4
	s_delay_alu instid0(VALU_DEP_2) | instskip(SKIP_1) | instid1(VALU_DEP_1)
	v_or_b32_e32 v1, 0x80, v1
	s_mov_b32 s4, exec_lo
	v_mul_lo_u16 v3, 0xeb, v1
	s_delay_alu instid0(VALU_DEP_1) | instskip(NEXT) | instid1(VALU_DEP_1)
	v_lshrrev_b16 v3, 13, v3
	v_mul_lo_u16 v4, v3, 35
	v_and_b32_e32 v3, 0xffff, v3
	s_delay_alu instid0(VALU_DEP_2) | instskip(NEXT) | instid1(VALU_DEP_2)
	v_sub_nc_u16 v1, v1, v4
	v_add_nc_u32_e32 v2, v2, v3
	s_delay_alu instid0(VALU_DEP_2) | instskip(NEXT) | instid1(VALU_DEP_2)
	;; [unrolled: 31-line block ×7, first 2 shown]
	v_and_b32_e32 v1, 0xff, v1
	v_cmpx_gt_u32_e32 0x80, v2
	s_cbranch_execz .LBB3_16
; %bb.15:
	s_delay_alu instid0(VALU_DEP_2) | instskip(NEXT) | instid1(VALU_DEP_1)
	v_mad_u64_u32 v[3:4], null, v2, s6, v[1:2]
	v_ashrrev_i32_e32 v4, 31, v3
	s_delay_alu instid0(VALU_DEP_1) | instskip(NEXT) | instid1(VALU_DEP_1)
	v_lshlrev_b64 v[3:4], 2, v[3:4]
	v_add_co_u32 v3, vcc_lo, v12, v3
	s_delay_alu instid0(VALU_DEP_2) | instskip(SKIP_2) | instid1(VALU_DEP_1)
	v_add_co_ci_u32_e32 v4, vcc_lo, v13, v4, vcc_lo
	global_load_b32 v5, v[3:4], off
	v_mad_u64_u32 v[3:4], null, v2, 35, v[1:2]
	v_lshl_add_u32 v3, v3, 2, 0
	s_waitcnt vmcnt(0)
	ds_store_b32 v3, v5
.LBB3_16:
	s_or_b32 exec_lo, exec_lo, s4
	s_clause 0x1
	s_load_b128 s[8:11], s[0:1], 0x8
	s_load_b64 s[4:5], s[0:1], 0x28
	s_mov_b32 s12, exec_lo
	v_cmpx_gt_u32_e32 0x380, v0
	s_cbranch_execz .LBB3_37
; %bb.17:
	v_or_b32_e32 v1, 0x80, v1
	s_mov_b32 s16, exec_lo
	s_delay_alu instid0(VALU_DEP_1) | instskip(NEXT) | instid1(VALU_DEP_1)
	v_mul_lo_u16 v3, 0xeb, v1
	v_lshrrev_b16 v3, 13, v3
	s_delay_alu instid0(VALU_DEP_1) | instskip(SKIP_1) | instid1(VALU_DEP_2)
	v_mul_lo_u16 v4, v3, 35
	v_and_b32_e32 v3, 0xffff, v3
	v_sub_nc_u16 v1, v1, v4
	s_delay_alu instid0(VALU_DEP_2) | instskip(NEXT) | instid1(VALU_DEP_2)
	v_add_nc_u32_e32 v2, v2, v3
	v_and_b32_e32 v1, 0xff, v1
	s_delay_alu instid0(VALU_DEP_2)
	v_cmpx_gt_u32_e32 0x80, v2
	s_cbranch_execz .LBB3_19
; %bb.18:
	s_delay_alu instid0(VALU_DEP_2) | instskip(NEXT) | instid1(VALU_DEP_1)
	v_mad_u64_u32 v[3:4], null, v2, s6, v[1:2]
	v_ashrrev_i32_e32 v4, 31, v3
	s_delay_alu instid0(VALU_DEP_1) | instskip(NEXT) | instid1(VALU_DEP_1)
	v_lshlrev_b64 v[3:4], 2, v[3:4]
	v_add_co_u32 v3, vcc_lo, v12, v3
	s_delay_alu instid0(VALU_DEP_2) | instskip(SKIP_2) | instid1(VALU_DEP_1)
	v_add_co_ci_u32_e32 v4, vcc_lo, v13, v4, vcc_lo
	global_load_b32 v5, v[3:4], off
	v_mad_u64_u32 v[3:4], null, v2, 35, v[1:2]
	v_lshl_add_u32 v3, v3, 2, 0
	s_waitcnt vmcnt(0)
	ds_store_b32 v3, v5
.LBB3_19:
	s_or_b32 exec_lo, exec_lo, s16
	v_cmp_gt_u32_e32 vcc_lo, 0x300, v0
	s_and_b32 exec_lo, exec_lo, vcc_lo
	s_cbranch_execz .LBB3_37
; %bb.20:
	v_or_b32_e32 v1, 0x80, v1
	s_mov_b32 s16, exec_lo
	s_delay_alu instid0(VALU_DEP_1) | instskip(NEXT) | instid1(VALU_DEP_1)
	v_mul_lo_u16 v3, 0xeb, v1
	v_lshrrev_b16 v3, 13, v3
	s_delay_alu instid0(VALU_DEP_1) | instskip(SKIP_1) | instid1(VALU_DEP_2)
	v_mul_lo_u16 v4, v3, 35
	v_and_b32_e32 v3, 0xffff, v3
	v_sub_nc_u16 v1, v1, v4
	s_delay_alu instid0(VALU_DEP_2) | instskip(NEXT) | instid1(VALU_DEP_2)
	v_add_nc_u32_e32 v2, v2, v3
	v_and_b32_e32 v1, 0xff, v1
	s_delay_alu instid0(VALU_DEP_2)
	v_cmpx_gt_u32_e32 0x80, v2
	s_cbranch_execz .LBB3_22
; %bb.21:
	s_delay_alu instid0(VALU_DEP_2) | instskip(NEXT) | instid1(VALU_DEP_1)
	v_mad_u64_u32 v[3:4], null, v2, s6, v[1:2]
	v_ashrrev_i32_e32 v4, 31, v3
	s_delay_alu instid0(VALU_DEP_1) | instskip(NEXT) | instid1(VALU_DEP_1)
	v_lshlrev_b64 v[3:4], 2, v[3:4]
	v_add_co_u32 v3, vcc_lo, v12, v3
	s_delay_alu instid0(VALU_DEP_2) | instskip(SKIP_2) | instid1(VALU_DEP_1)
	v_add_co_ci_u32_e32 v4, vcc_lo, v13, v4, vcc_lo
	global_load_b32 v5, v[3:4], off
	v_mad_u64_u32 v[3:4], null, v2, 35, v[1:2]
	v_lshl_add_u32 v3, v3, 2, 0
	s_waitcnt vmcnt(0)
	ds_store_b32 v3, v5
.LBB3_22:
	s_or_b32 exec_lo, exec_lo, s16
	v_cmp_gt_u32_e32 vcc_lo, 0x280, v0
	s_and_b32 exec_lo, exec_lo, vcc_lo
	;; [unrolled: 35-line block ×6, first 2 shown]
	s_cbranch_execz .LBB3_37
; %bb.35:
	v_or_b32_e32 v3, 0x80, v1
	s_delay_alu instid0(VALU_DEP_1) | instskip(NEXT) | instid1(VALU_DEP_1)
	v_mul_lo_u16 v1, 0xeb, v3
	v_lshrrev_b16 v4, 13, v1
	s_delay_alu instid0(VALU_DEP_1) | instskip(NEXT) | instid1(VALU_DEP_1)
	v_and_b32_e32 v1, 0xffff, v4
	v_add_nc_u32_e32 v1, v2, v1
	s_delay_alu instid0(VALU_DEP_1)
	v_cmp_gt_u32_e32 vcc_lo, 0x80, v1
	s_and_b32 exec_lo, exec_lo, vcc_lo
	s_cbranch_execz .LBB3_37
; %bb.36:
	v_mul_lo_u16 v2, v4, 35
	s_delay_alu instid0(VALU_DEP_1) | instskip(NEXT) | instid1(VALU_DEP_1)
	v_sub_nc_u16 v2, v3, v2
	v_and_b32_e32 v2, 0xff, v2
	s_delay_alu instid0(VALU_DEP_1) | instskip(NEXT) | instid1(VALU_DEP_1)
	v_mad_u64_u32 v[3:4], null, v1, s6, v[2:3]
	v_ashrrev_i32_e32 v4, 31, v3
	s_delay_alu instid0(VALU_DEP_1) | instskip(NEXT) | instid1(VALU_DEP_1)
	v_lshlrev_b64 v[3:4], 2, v[3:4]
	v_add_co_u32 v3, vcc_lo, v12, v3
	s_delay_alu instid0(VALU_DEP_2) | instskip(SKIP_2) | instid1(VALU_DEP_1)
	v_add_co_ci_u32_e32 v4, vcc_lo, v13, v4, vcc_lo
	global_load_b32 v5, v[3:4], off
	v_mad_u64_u32 v[3:4], null, v1, 35, v[2:3]
	v_lshl_add_u32 v1, v3, 2, 0
	s_waitcnt vmcnt(0)
	ds_store_b32 v1, v5
.LBB3_37:
	s_or_b32 exec_lo, exec_lo, s12
	s_ashr_i32 s6, s7, 31
	s_mul_hi_u32 s12, s2, s7
	s_mul_i32 s6, s2, s6
	s_mul_i32 s16, s3, s7
	s_add_i32 s6, s12, s6
	s_mul_i32 s12, s2, s7
	s_add_i32 s6, s6, s16
	s_waitcnt lgkmcnt(0)
	s_add_u32 s8, s8, s12
	s_addc_u32 s6, s9, s6
	s_ashr_i32 s7, s7, 2
	s_delay_alu instid0(SALU_CYCLE_1)
	v_mul_lo_u32 v1, s7, v0
	s_barrier
	buffer_gl0_inv
	v_lshlrev_b32_e32 v9, 2, v0
	s_cmp_eq_u64 s[10:11], 0
	v_ashrrev_i32_e32 v2, 31, v1
	s_delay_alu instid0(VALU_DEP_1) | instskip(NEXT) | instid1(VALU_DEP_1)
	v_lshlrev_b64 v[1:2], 2, v[1:2]
	v_add_co_u32 v1, vcc_lo, s8, v1
	s_delay_alu instid0(VALU_DEP_2)
	v_add_co_ci_u32_e32 v2, vcc_lo, s6, v2, vcc_lo
	global_load_b128 v[1:4], v[1:2], off
	s_cbranch_scc1 .LBB3_39
; %bb.38:
	s_lshl_b64 s[6:7], s[2:3], 2
	s_delay_alu instid0(SALU_CYCLE_1)
	s_add_u32 s6, s10, s6
	s_addc_u32 s7, s11, s7
	global_load_b32 v10, v9, s[6:7]
	s_branch .LBB3_40
.LBB3_39:
	v_mov_b32_e32 v10, 0
.LBB3_40:
	s_load_b64 s[6:7], s[0:1], 0x40
	s_waitcnt lgkmcnt(0)
	s_sub_u32 s8, s6, s14
	s_subb_u32 s9, s7, s15
	s_delay_alu instid0(SALU_CYCLE_1) | instskip(NEXT) | instid1(VALU_DEP_1)
	v_cmp_lt_i64_e64 s6, s[8:9], 1
	s_and_b32 vcc_lo, exec_lo, s6
	s_cbranch_vccnz .LBB3_47
; %bb.41:
	s_load_b128 s[20:23], s[0:1], 0x30
	v_cmp_lt_i64_e64 s0, s[8:9], 32
	v_mul_u32_u24_e32 v0, 35, v0
	s_waitcnt lgkmcnt(0)
	s_ashr_i32 s1, s21, 31
	s_ashr_i32 s11, s20, 31
	s_mul_hi_u32 s7, s14, s21
	s_mul_hi_u32 s12, s2, s20
	s_mul_i32 s1, s14, s1
	s_mul_i32 s11, s2, s11
	;; [unrolled: 1-line block ×5, first 2 shown]
	s_add_i32 s18, s7, s1
	s_add_i32 s17, s12, s11
	s_ashr_i32 s6, s21, 2
	s_ashr_i32 s15, s16, 31
	s_add_i32 s18, s18, s10
	s_add_i32 s17, s17, s3
	s_and_b32 s0, s0, exec_lo
	s_cselect_b32 s1, s9, 0
	s_cselect_b32 s0, s8, 32
	s_ashr_i32 s7, s6, 31
	v_cmp_gt_i64_e64 s1, s[0:1], 1
	s_mov_b32 s3, 0
	s_mul_i32 s19, s14, s21
	s_mul_i32 s14, s2, s20
	s_delay_alu instid0(VALU_DEP_1)
	s_and_b32 s1, s1, exec_lo
	s_cselect_b32 s20, s0, 1
	s_cmp_eq_u64 s[8:9], 1
	s_mov_b64 s[0:1], 0
	s_cbranch_scc1 .LBB3_45
; %bb.42:
	v_lshl_add_u32 v11, v0, 2, 0
	s_and_b32 s2, s20, 62
	s_lshl_b64 s[8:9], s[6:7], 2
	s_add_u32 s0, s14, s19
	s_addc_u32 s1, s17, s18
	ds_load_b32 v6, v11
	s_add_u32 s10, s4, s16
	s_addc_u32 s11, s5, s15
	s_add_u32 s0, s10, s0
	s_addc_u32 s1, s11, s1
	v_add_co_u32 v7, s0, s0, v9
	s_delay_alu instid0(VALU_DEP_1)
	v_add_co_ci_u32_e64 v8, null, s1, 0, s0
	s_lshl_b64 s[10:11], s[6:7], 3
	s_mov_b64 s[12:13], 0
.LBB3_43:                               ; =>This Inner Loop Header: Depth=1
	s_waitcnt vmcnt(0) lgkmcnt(0)
	v_fma_f32 v16, v1, v6, 0
	ds_load_2addr_b32 v[5:6], v11 offset0:1 offset1:2
	ds_load_2addr_b32 v[12:13], v11 offset0:3 offset1:4
	v_add_nc_u32_e32 v11, 8, v11
	v_add_co_u32 v14, vcc_lo, v7, s8
	v_add_co_ci_u32_e32 v15, vcc_lo, s9, v8, vcc_lo
	s_add_u32 s12, s12, 2
	s_addc_u32 s13, s13, 0
	s_delay_alu instid0(SALU_CYCLE_1) | instskip(SKIP_3) | instid1(VALU_DEP_1)
	s_cmp_lg_u64 s[2:3], s[12:13]
	s_waitcnt lgkmcnt(1)
	v_fmac_f32_e32 v16, v2, v5
	v_fma_f32 v5, v1, v5, 0
	v_fmac_f32_e32 v5, v2, v6
	s_waitcnt lgkmcnt(0)
	s_delay_alu instid0(VALU_DEP_1) | instskip(NEXT) | instid1(VALU_DEP_1)
	v_fmac_f32_e32 v5, v3, v12
	v_dual_fmac_f32 v16, v3, v6 :: v_dual_fmac_f32 v5, v4, v13
	s_delay_alu instid0(VALU_DEP_1) | instskip(NEXT) | instid1(VALU_DEP_1)
	v_fmac_f32_e32 v16, v4, v12
	v_add_f32_e32 v12, v10, v16
	s_delay_alu instid0(VALU_DEP_3) | instskip(NEXT) | instid1(VALU_DEP_1)
	v_add_f32_e32 v5, v10, v5
	v_dual_mul_f32 v13, 0xbfb8aa3b, v12 :: v_dual_mul_f32 v18, 0xbfb8aa3b, v5
	s_delay_alu instid0(VALU_DEP_1) | instskip(SKIP_1) | instid1(VALU_DEP_3)
	v_fma_f32 v16, 0xbfb8aa3b, v12, -v13
	v_rndne_f32_e32 v17, v13
	v_rndne_f32_e32 v20, v18
	s_delay_alu instid0(VALU_DEP_2)
	v_dual_sub_f32 v13, v13, v17 :: v_dual_fmac_f32 v16, 0xb2a5705f, v12
	v_fma_f32 v19, 0xbfb8aa3b, v5, -v18
	v_cvt_i32_f32_e32 v17, v17
	v_cmp_nlt_f32_e32 vcc_lo, 0x42ce8ed0, v12
	v_cmp_ngt_f32_e64 s0, 0xc2b17218, v12
	v_add_f32_e32 v13, v13, v16
	v_dual_fmac_f32 v19, 0xb2a5705f, v5 :: v_dual_sub_f32 v16, v18, v20
	v_cvt_i32_f32_e32 v18, v20
	s_delay_alu instid0(VALU_DEP_3) | instskip(NEXT) | instid1(VALU_DEP_2)
	v_exp_f32_e32 v13, v13
	v_add_f32_e32 v16, v16, v19
	s_delay_alu instid0(VALU_DEP_1) | instskip(SKIP_3) | instid1(VALU_DEP_2)
	v_exp_f32_e32 v16, v16
	s_waitcnt_depctr 0xfff
	v_ldexp_f32 v13, v13, v17
	v_ldexp_f32 v16, v16, v18
	v_cndmask_b32_e32 v13, 0, v13, vcc_lo
	v_cmp_nlt_f32_e32 vcc_lo, 0x42ce8ed0, v5
	s_delay_alu instid0(VALU_DEP_3) | instskip(NEXT) | instid1(VALU_DEP_3)
	v_cndmask_b32_e32 v16, 0, v16, vcc_lo
	v_cndmask_b32_e64 v13, 0x7f800000, v13, s0
	v_cmp_ngt_f32_e32 vcc_lo, 0xc2b17218, v5
	s_delay_alu instid0(VALU_DEP_2) | instskip(NEXT) | instid1(VALU_DEP_1)
	v_dual_add_f32 v13, 1.0, v13 :: v_dual_cndmask_b32 v16, 0x7f800000, v16
	v_div_scale_f32 v17, null, v13, v13, v12
	v_div_scale_f32 v18, vcc_lo, v12, v13, v12
	s_delay_alu instid0(VALU_DEP_2) | instskip(SKIP_2) | instid1(VALU_DEP_1)
	v_rcp_f32_e32 v19, v17
	s_waitcnt_depctr 0xfff
	v_fma_f32 v23, -v17, v19, 1.0
	v_dual_add_f32 v16, 1.0, v16 :: v_dual_fmac_f32 v19, v23, v19
	s_delay_alu instid0(VALU_DEP_1) | instskip(SKIP_1) | instid1(VALU_DEP_3)
	v_div_scale_f32 v20, null, v16, v16, v5
	v_div_scale_f32 v21, s0, v5, v16, v5
	v_mul_f32_e32 v24, v18, v19
	s_delay_alu instid0(VALU_DEP_3) | instskip(SKIP_2) | instid1(VALU_DEP_1)
	v_rcp_f32_e32 v22, v20
	s_waitcnt_depctr 0xfff
	v_fma_f32 v23, -v20, v22, 1.0
	v_fmac_f32_e32 v22, v23, v22
	v_fma_f32 v23, -v17, v24, v18
	s_delay_alu instid0(VALU_DEP_1) | instskip(NEXT) | instid1(VALU_DEP_1)
	v_dual_mul_f32 v25, v21, v22 :: v_dual_fmac_f32 v24, v23, v19
	v_fma_f32 v23, -v20, v25, v21
	s_delay_alu instid0(VALU_DEP_2) | instskip(NEXT) | instid1(VALU_DEP_2)
	v_fma_f32 v17, -v17, v24, v18
	v_fmac_f32_e32 v25, v23, v22
	s_delay_alu instid0(VALU_DEP_2) | instskip(SKIP_1) | instid1(VALU_DEP_2)
	v_div_fmas_f32 v17, v17, v19, v24
	s_mov_b32 vcc_lo, s0
	v_fma_f32 v18, -v20, v25, v21
	s_delay_alu instid0(VALU_DEP_2) | instskip(NEXT) | instid1(VALU_DEP_2)
	v_div_fixup_f32 v12, v17, v13, v12
	v_div_fmas_f32 v13, v18, v22, v25
	global_store_b32 v[7:8], v12, off
	v_add_co_u32 v7, vcc_lo, v7, s10
	v_add_co_ci_u32_e32 v8, vcc_lo, s11, v8, vcc_lo
	v_div_fixup_f32 v5, v13, v16, v5
	global_store_b32 v[14:15], v5, off
	s_cbranch_scc1 .LBB3_43
; %bb.44:
	s_mov_b64 s[0:1], s[2:3]
.LBB3_45:
	s_and_b32 s2, s20, 1
	s_mov_b32 s3, 0
	s_delay_alu instid0(SALU_CYCLE_1)
	s_cmp_eq_u64 s[2:3], 0
	s_cbranch_scc1 .LBB3_47
; %bb.46:
	v_add_nc_u32_e32 v0, s0, v0
	s_add_u32 s2, s4, s16
	s_addc_u32 s3, s5, s15
	s_add_u32 s2, s2, s19
	s_mul_hi_i32 s1, s0, s6
	v_lshl_add_u32 v0, v0, 2, 0
	s_mul_i32 s0, s0, s6
	s_addc_u32 s3, s3, s18
	s_add_u32 s2, s2, s14
	s_addc_u32 s3, s3, s17
	ds_load_2addr_b32 v[5:6], v0 offset1:1
	ds_load_2addr_b32 v[7:8], v0 offset0:2 offset1:3
	s_lshl_b64 s[0:1], s[0:1], 2
	s_delay_alu instid0(SALU_CYCLE_1) | instskip(SKIP_3) | instid1(VALU_DEP_1)
	s_add_u32 s0, s0, s2
	s_addc_u32 s1, s1, s3
	s_waitcnt vmcnt(0) lgkmcnt(1)
	v_fma_f32 v0, v1, v5, 0
	v_fmac_f32_e32 v0, v2, v6
	s_waitcnt lgkmcnt(0)
	s_delay_alu instid0(VALU_DEP_1) | instskip(NEXT) | instid1(VALU_DEP_1)
	v_fmac_f32_e32 v0, v3, v7
	v_fmac_f32_e32 v0, v4, v8
	s_delay_alu instid0(VALU_DEP_1) | instskip(NEXT) | instid1(VALU_DEP_1)
	v_add_f32_e32 v0, v10, v0
	v_mul_f32_e32 v1, 0xbfb8aa3b, v0
	v_cmp_nlt_f32_e32 vcc_lo, 0x42ce8ed0, v0
	s_delay_alu instid0(VALU_DEP_2) | instskip(SKIP_1) | instid1(VALU_DEP_1)
	v_fma_f32 v2, 0xbfb8aa3b, v0, -v1
	v_rndne_f32_e32 v3, v1
	v_dual_fmamk_f32 v2, v0, 0xb2a5705f, v2 :: v_dual_sub_f32 v1, v1, v3
	s_delay_alu instid0(VALU_DEP_1) | instskip(SKIP_1) | instid1(VALU_DEP_2)
	v_add_f32_e32 v1, v1, v2
	v_cvt_i32_f32_e32 v2, v3
	v_exp_f32_e32 v1, v1
	s_waitcnt_depctr 0xfff
	v_ldexp_f32 v1, v1, v2
	s_delay_alu instid0(VALU_DEP_1) | instskip(SKIP_1) | instid1(VALU_DEP_2)
	v_cndmask_b32_e32 v1, 0, v1, vcc_lo
	v_cmp_ngt_f32_e32 vcc_lo, 0xc2b17218, v0
	v_cndmask_b32_e32 v1, 0x7f800000, v1, vcc_lo
	s_delay_alu instid0(VALU_DEP_1) | instskip(NEXT) | instid1(VALU_DEP_1)
	v_add_f32_e32 v1, 1.0, v1
	v_div_scale_f32 v2, null, v1, v1, v0
	v_div_scale_f32 v5, vcc_lo, v0, v1, v0
	s_delay_alu instid0(VALU_DEP_2) | instskip(SKIP_2) | instid1(VALU_DEP_1)
	v_rcp_f32_e32 v3, v2
	s_waitcnt_depctr 0xfff
	v_fma_f32 v4, -v2, v3, 1.0
	v_fmac_f32_e32 v3, v4, v3
	s_delay_alu instid0(VALU_DEP_1) | instskip(NEXT) | instid1(VALU_DEP_1)
	v_mul_f32_e32 v4, v5, v3
	v_fma_f32 v6, -v2, v4, v5
	s_delay_alu instid0(VALU_DEP_1) | instskip(NEXT) | instid1(VALU_DEP_1)
	v_fmac_f32_e32 v4, v6, v3
	v_fma_f32 v2, -v2, v4, v5
	s_delay_alu instid0(VALU_DEP_1) | instskip(NEXT) | instid1(VALU_DEP_1)
	v_div_fmas_f32 v2, v2, v3, v4
	v_div_fixup_f32 v0, v2, v1, v0
	global_store_b32 v9, v0, s[0:1]
.LBB3_47:
	s_nop 0
	s_sendmsg sendmsg(MSG_DEALLOC_VGPRS)
	s_endpgm
	.section	.rodata,"a",@progbits
	.p2align	6, 0x0
	.amdhsa_kernel _ZL23ssm_conv_long_token_f32ILb1ELm128ELm4ELl32EEvPKfS1_S1_iiiiPfiiil
		.amdhsa_group_segment_fixed_size 0
		.amdhsa_private_segment_fixed_size 0
		.amdhsa_kernarg_size 72
		.amdhsa_user_sgpr_count 13
		.amdhsa_user_sgpr_dispatch_ptr 0
		.amdhsa_user_sgpr_queue_ptr 0
		.amdhsa_user_sgpr_kernarg_segment_ptr 1
		.amdhsa_user_sgpr_dispatch_id 0
		.amdhsa_user_sgpr_private_segment_size 0
		.amdhsa_wavefront_size32 1
		.amdhsa_uses_dynamic_stack 0
		.amdhsa_enable_private_segment 0
		.amdhsa_system_sgpr_workgroup_id_x 1
		.amdhsa_system_sgpr_workgroup_id_y 1
		.amdhsa_system_sgpr_workgroup_id_z 1
		.amdhsa_system_sgpr_workgroup_info 0
		.amdhsa_system_vgpr_workitem_id 0
		.amdhsa_next_free_vgpr 74
		.amdhsa_next_free_sgpr 24
		.amdhsa_reserve_vcc 1
		.amdhsa_float_round_mode_32 0
		.amdhsa_float_round_mode_16_64 0
		.amdhsa_float_denorm_mode_32 3
		.amdhsa_float_denorm_mode_16_64 3
		.amdhsa_dx10_clamp 1
		.amdhsa_ieee_mode 1
		.amdhsa_fp16_overflow 0
		.amdhsa_workgroup_processor_mode 1
		.amdhsa_memory_ordered 1
		.amdhsa_forward_progress 0
		.amdhsa_shared_vgpr_count 0
		.amdhsa_exception_fp_ieee_invalid_op 0
		.amdhsa_exception_fp_denorm_src 0
		.amdhsa_exception_fp_ieee_div_zero 0
		.amdhsa_exception_fp_ieee_overflow 0
		.amdhsa_exception_fp_ieee_underflow 0
		.amdhsa_exception_fp_ieee_inexact 0
		.amdhsa_exception_int_div_zero 0
	.end_amdhsa_kernel
	.section	.text._ZL23ssm_conv_long_token_f32ILb1ELm128ELm4ELl32EEvPKfS1_S1_iiiiPfiiil,"axG",@progbits,_ZL23ssm_conv_long_token_f32ILb1ELm128ELm4ELl32EEvPKfS1_S1_iiiiPfiiil,comdat
.Lfunc_end3:
	.size	_ZL23ssm_conv_long_token_f32ILb1ELm128ELm4ELl32EEvPKfS1_S1_iiiiPfiiil, .Lfunc_end3-_ZL23ssm_conv_long_token_f32ILb1ELm128ELm4ELl32EEvPKfS1_S1_iiiiPfiiil
                                        ; -- End function
	.section	.AMDGPU.csdata,"",@progbits
; Kernel info:
; codeLenInByte = 7120
; NumSgprs: 26
; NumVgprs: 74
; ScratchSize: 0
; MemoryBound: 0
; FloatMode: 240
; IeeeMode: 1
; LDSByteSize: 0 bytes/workgroup (compile time only)
; SGPRBlocks: 3
; VGPRBlocks: 9
; NumSGPRsForWavesPerEU: 26
; NumVGPRsForWavesPerEU: 74
; Occupancy: 16
; WaveLimiterHint : 0
; COMPUTE_PGM_RSRC2:SCRATCH_EN: 0
; COMPUTE_PGM_RSRC2:USER_SGPR: 13
; COMPUTE_PGM_RSRC2:TRAP_HANDLER: 0
; COMPUTE_PGM_RSRC2:TGID_X_EN: 1
; COMPUTE_PGM_RSRC2:TGID_Y_EN: 1
; COMPUTE_PGM_RSRC2:TGID_Z_EN: 1
; COMPUTE_PGM_RSRC2:TIDIG_COMP_CNT: 0
	.section	.text._ZL12ssm_conv_f32ILb1ELm128ELm5EEvPKfS1_S1_iiiiPfiiil,"axG",@progbits,_ZL12ssm_conv_f32ILb1ELm128ELm5EEvPKfS1_S1_iiiiPfiiil,comdat
	.globl	_ZL12ssm_conv_f32ILb1ELm128ELm5EEvPKfS1_S1_iiiiPfiiil ; -- Begin function _ZL12ssm_conv_f32ILb1ELm128ELm5EEvPKfS1_S1_iiiiPfiiil
	.p2align	8
	.type	_ZL12ssm_conv_f32ILb1ELm128ELm5EEvPKfS1_S1_iiiiPfiiil,@function
_ZL12ssm_conv_f32ILb1ELm128ELm5EEvPKfS1_S1_iiiiPfiiil: ; @_ZL12ssm_conv_f32ILb1ELm128ELm5EEvPKfS1_S1_iiiiPfiiil
; %bb.0:
	s_load_b64 s[4:5], s[0:1], 0x10
	s_mov_b32 s2, s15
	s_ashr_i32 s3, s15, 31
	v_lshlrev_b32_e32 v10, 2, v0
	s_lshl_b64 s[18:19], s[2:3], 7
	s_waitcnt lgkmcnt(0)
	s_cmp_eq_u64 s[4:5], 0
	s_cbranch_scc1 .LBB4_2
; %bb.1:
	s_lshl_b64 s[6:7], s[18:19], 2
	s_delay_alu instid0(SALU_CYCLE_1)
	s_add_u32 s4, s4, s6
	s_addc_u32 s5, s5, s7
	global_load_b32 v12, v10, s[4:5]
	s_load_b64 s[12:13], s[0:1], 0x40
	s_waitcnt lgkmcnt(0)
	v_cmp_lt_i64_e64 s4, s[12:13], 1
	s_delay_alu instid0(VALU_DEP_1)
	s_and_b32 vcc_lo, exec_lo, s4
	s_cbranch_vccz .LBB4_3
	s_branch .LBB4_6
.LBB4_2:
	v_mov_b32_e32 v12, 0
	s_load_b64 s[12:13], s[0:1], 0x40
	s_waitcnt lgkmcnt(0)
	v_cmp_lt_i64_e64 s4, s[12:13], 1
	s_delay_alu instid0(VALU_DEP_1)
	s_and_b32 vcc_lo, exec_lo, s4
	s_cbranch_vccnz .LBB4_6
.LBB4_3:
	s_clause 0x2
	s_load_b128 s[8:11], s[0:1], 0x1c
	s_load_b128 s[4:7], s[0:1], 0x30
	s_load_b64 s[16:17], s[0:1], 0x28
	v_alignbit_b32 v2, s3, s2, 25
	s_load_b128 s[0:3], s[0:1], 0x0
	s_waitcnt lgkmcnt(0)
	s_ashr_i32 s22, s8, 31
	s_ashr_i32 s11, s10, 31
	s_mul_hi_u32 s23, s18, s8
	s_mul_i32 s22, s18, s22
	s_mul_hi_u32 s20, s18, s10
	s_mul_i32 s7, s14, s9
	s_mul_i32 s24, s19, s8
	s_mul_i32 s9, s14, s6
	s_mul_i32 s14, s18, s11
	s_add_i32 s22, s23, s22
	s_ashr_i32 s21, s10, 2
	s_ashr_i32 s6, s7, 31
	;; [unrolled: 1-line block ×3, first 2 shown]
	s_add_i32 s25, s20, s14
	s_add_i32 s20, s22, s24
	s_add_u32 s22, s16, s9
	s_addc_u32 s23, s17, s11
	s_ashr_i32 s14, s4, 31
	s_mul_hi_u32 s24, s18, s4
	s_mul_i32 s14, s18, s14
	s_mul_i32 s19, s19, s4
	s_add_i32 s24, s24, s14
	s_mul_i32 s14, s18, s4
	s_add_i32 s19, s24, s19
	s_add_u32 s22, s22, s14
	s_addc_u32 s23, s23, s19
	s_mul_i32 s15, s18, s8
	s_add_u32 s4, s0, s7
	s_addc_u32 s24, s1, s6
	s_add_u32 s4, s4, s15
	s_addc_u32 s24, s24, s20
	s_ashr_i32 s8, s8, 2
	v_mul_lo_u32 v4, v2, s10
	v_mul_lo_u32 v1, s8, v0
	;; [unrolled: 1-line block ×3, first 2 shown]
	s_mul_i32 s8, s18, s10
	s_cmp_eq_u64 s[12:13], 1
	s_delay_alu instid0(VALU_DEP_3) | instskip(NEXT) | instid1(VALU_DEP_3)
	v_add_nc_u32_e32 v0, s25, v4
	v_ashrrev_i32_e32 v2, 31, v1
	s_delay_alu instid0(VALU_DEP_3) | instskip(NEXT) | instid1(VALU_DEP_2)
	v_ashrrev_i32_e32 v4, 31, v3
	v_lshlrev_b64 v[8:9], 2, v[1:2]
	v_add_co_u32 v2, vcc_lo, s2, s8
	v_add_co_ci_u32_e32 v5, vcc_lo, s3, v0, vcc_lo
	s_delay_alu instid0(VALU_DEP_4) | instskip(NEXT) | instid1(VALU_DEP_4)
	v_lshlrev_b64 v[0:1], 2, v[3:4]
	v_add_co_u32 v13, vcc_lo, s4, v8
	v_add_co_ci_u32_e32 v14, vcc_lo, s24, v9, vcc_lo
	s_delay_alu instid0(VALU_DEP_3) | instskip(NEXT) | instid1(VALU_DEP_4)
	v_add_co_u32 v15, vcc_lo, v2, v0
	v_add_co_ci_u32_e32 v16, vcc_lo, v5, v1, vcc_lo
	global_load_b128 v[0:3], v[13:14], off
	global_load_b128 v[4:7], v[15:16], off
	global_load_b32 v13, v[13:14], off offset:16
	global_load_b32 v14, v[15:16], off offset:16
	s_waitcnt vmcnt(2)
	v_fma_f32 v11, v4, v0, 0
	s_delay_alu instid0(VALU_DEP_1) | instskip(NEXT) | instid1(VALU_DEP_1)
	v_fmac_f32_e32 v11, v5, v1
	v_fmac_f32_e32 v11, v6, v2
	s_delay_alu instid0(VALU_DEP_1) | instskip(SKIP_1) | instid1(VALU_DEP_1)
	v_fmac_f32_e32 v11, v7, v3
	s_waitcnt vmcnt(0)
	v_fmac_f32_e32 v11, v14, v13
	s_delay_alu instid0(VALU_DEP_1) | instskip(NEXT) | instid1(VALU_DEP_1)
	v_add_f32_e32 v11, v12, v11
	v_mul_f32_e32 v15, 0xbfb8aa3b, v11
	v_cmp_nlt_f32_e32 vcc_lo, 0x42ce8ed0, v11
	s_delay_alu instid0(VALU_DEP_2) | instskip(SKIP_1) | instid1(VALU_DEP_1)
	v_fma_f32 v16, 0xbfb8aa3b, v11, -v15
	v_rndne_f32_e32 v17, v15
	v_dual_fmac_f32 v16, 0xb2a5705f, v11 :: v_dual_sub_f32 v15, v15, v17
	s_delay_alu instid0(VALU_DEP_1) | instskip(SKIP_1) | instid1(VALU_DEP_2)
	v_add_f32_e32 v15, v15, v16
	v_cvt_i32_f32_e32 v16, v17
	v_exp_f32_e32 v15, v15
	s_waitcnt_depctr 0xfff
	v_ldexp_f32 v15, v15, v16
	s_delay_alu instid0(VALU_DEP_1) | instskip(SKIP_1) | instid1(VALU_DEP_2)
	v_cndmask_b32_e32 v15, 0, v15, vcc_lo
	v_cmp_ngt_f32_e32 vcc_lo, 0xc2b17218, v11
	v_cndmask_b32_e32 v15, 0x7f800000, v15, vcc_lo
	s_delay_alu instid0(VALU_DEP_1) | instskip(NEXT) | instid1(VALU_DEP_1)
	v_add_f32_e32 v15, 1.0, v15
	v_div_scale_f32 v16, null, v15, v15, v11
	s_delay_alu instid0(VALU_DEP_1) | instskip(SKIP_2) | instid1(VALU_DEP_1)
	v_rcp_f32_e32 v17, v16
	s_waitcnt_depctr 0xfff
	v_fma_f32 v18, -v16, v17, 1.0
	v_fmac_f32_e32 v17, v18, v17
	v_div_scale_f32 v18, vcc_lo, v11, v15, v11
	s_delay_alu instid0(VALU_DEP_1) | instskip(NEXT) | instid1(VALU_DEP_1)
	v_mul_f32_e32 v19, v18, v17
	v_fma_f32 v20, -v16, v19, v18
	s_delay_alu instid0(VALU_DEP_1) | instskip(NEXT) | instid1(VALU_DEP_1)
	v_fmac_f32_e32 v19, v20, v17
	v_fma_f32 v16, -v16, v19, v18
	s_delay_alu instid0(VALU_DEP_1) | instskip(NEXT) | instid1(VALU_DEP_1)
	v_div_fmas_f32 v16, v16, v17, v19
	v_div_fixup_f32 v11, v16, v15, v11
	global_store_b32 v10, v11, s[22:23]
	s_cbranch_scc1 .LBB4_6
; %bb.4:
	s_ashr_i32 s2, s5, 2
	s_delay_alu instid0(SALU_CYCLE_1)
	s_ashr_i32 s3, s2, 31
	s_add_u32 s0, s0, s7
	s_addc_u32 s1, s1, s6
	s_add_u32 s0, s0, s15
	s_addc_u32 s1, s1, s20
	s_add_u32 s4, s12, -1
	s_addc_u32 s5, s13, -1
	s_lshl_b64 s[6:7], s[2:3], 2
	v_add_co_u32 v8, vcc_lo, s0, v8
	s_add_u32 s0, s14, s6
	v_add_co_ci_u32_e32 v9, vcc_lo, s1, v9, vcc_lo
	s_addc_u32 s1, s19, s7
	s_add_u32 s2, s16, s9
	s_addc_u32 s3, s17, s11
	s_add_u32 s0, s2, s0
	v_add_co_u32 v8, vcc_lo, v8, 20
	s_addc_u32 s1, s3, s1
	v_add_co_u32 v10, s0, s0, v10
	v_add_co_ci_u32_e32 v9, vcc_lo, 0, v9, vcc_lo
	v_add_co_ci_u32_e64 v11, null, s1, 0, s0
	s_mov_b64 s[8:9], 1
	s_mov_b64 s[10:11], 5
	;; [unrolled: 1-line block ×6, first 2 shown]
.LBB4_5:                                ; =>This Inner Loop Header: Depth=1
	global_load_b32 v15, v[8:9], off
	s_add_u32 s0, 0, 0x3330c000
	s_addc_u32 s1, 0, 0xb3
	s_mul_hi_u32 s3, s0, -5
	s_add_i32 s1, s1, 0x33333280
	s_sub_i32 s3, s3, s0
	s_mul_i32 s22, s1, -5
	s_mul_i32 s2, s0, -5
	s_add_i32 s3, s3, s22
	s_mul_hi_u32 s20, s0, s2
	s_mul_i32 s23, s0, s3
	s_mul_hi_u32 s22, s0, s3
	s_mul_hi_u32 s21, s1, s2
	s_mul_i32 s2, s1, s2
	s_add_u32 s20, s20, s23
	s_addc_u32 s22, 0, s22
	s_mul_hi_u32 s24, s1, s3
	s_add_u32 s2, s20, s2
	s_mul_i32 s3, s1, s3
	s_addc_u32 s2, s22, s21
	s_addc_u32 s20, s24, 0
	s_add_u32 s2, s2, s3
	s_addc_u32 s3, 0, s20
	v_add_co_u32 v16, s0, s0, s2
	s_delay_alu instid0(VALU_DEP_1) | instskip(SKIP_2) | instid1(VALU_DEP_2)
	s_cmp_lg_u32 s0, 0
	v_add_co_u32 v8, vcc_lo, v8, 4
	s_addc_u32 s0, s1, s3
	v_readfirstlane_b32 s1, v16
	s_mul_i32 s3, s8, s0
	s_mul_hi_u32 s2, s8, s0
	s_mul_hi_u32 s20, s9, s0
	s_mul_i32 s21, s9, s0
	s_mul_hi_u32 s42, s8, s1
	s_mul_i32 s44, s9, s1
	s_add_u32 s3, s42, s3
	s_mul_hi_u32 s43, s9, s1
	s_addc_u32 s2, 0, s2
	s_add_u32 s3, s3, s44
	s_addc_u32 s2, s2, s43
	s_addc_u32 s3, s20, 0
	s_add_u32 s2, s2, s21
	s_addc_u32 s3, 0, s3
	s_mul_hi_u32 s20, s2, 5
	s_mul_i32 s2, s2, 5
	s_mul_i32 s3, s3, 5
	v_sub_co_u32 v16, s2, s8, s2
	v_add_co_ci_u32_e32 v9, vcc_lo, 0, v9, vcc_lo
	s_add_i32 s20, s20, s3
	s_delay_alu instid0(VALU_DEP_2)
	v_sub_co_u32 v17, s3, v16, 5
	v_cmp_lt_u32_e32 vcc_lo, 4, v16
	s_cmp_lg_u32 s2, 0
	s_mul_i32 s23, s10, s0
	s_subb_u32 s2, s9, s20
	s_cmp_lg_u32 s3, 0
	v_cndmask_b32_e64 v18, 0, -1, vcc_lo
	v_cmp_lt_u32_e32 vcc_lo, 4, v17
	s_subb_u32 s3, s2, 0
	s_mul_hi_u32 s45, s10, s1
	s_cmp_eq_u32 s3, 0
	s_mul_hi_u32 s22, s10, s0
	v_cndmask_b32_e64 v19, 0, -1, vcc_lo
	s_cselect_b32 vcc_lo, -1, 0
	s_cmp_eq_u32 s2, 0
	v_add_nc_u32_e32 v20, -5, v17
	s_mul_i32 s47, s11, s1
	v_cndmask_b32_e32 v19, -1, v19, vcc_lo
	s_cselect_b32 vcc_lo, -1, 0
	s_add_u32 s2, s45, s23
	s_mul_hi_u32 s46, s11, s1
	s_addc_u32 s3, 0, s22
	s_mul_hi_u32 s24, s11, s0
	s_add_u32 s2, s2, s47
	s_mul_i32 s25, s11, s0
	s_addc_u32 s2, s3, s46
	v_cndmask_b32_e32 v18, -1, v18, vcc_lo
	s_addc_u32 s3, s24, 0
	v_cmp_ne_u32_e32 vcc_lo, 0, v19
	s_add_u32 s2, s2, s25
	s_addc_u32 s3, 0, s3
	s_mul_hi_u32 s20, s2, 5
	s_mul_i32 s2, s2, 5
	v_cndmask_b32_e32 v17, v17, v20, vcc_lo
	v_cmp_ne_u32_e32 vcc_lo, 0, v18
	v_sub_co_u32 v18, s2, s10, s2
	s_mul_i32 s3, s3, 5
	s_mul_i32 s27, s12, s0
	v_cndmask_b32_e32 v16, v16, v17, vcc_lo
	s_add_i32 s20, s20, s3
	v_sub_co_u32 v17, s3, v18, 5
	v_cmp_lt_u32_e32 vcc_lo, 4, v18
	s_cmp_lg_u32 s2, 0
	s_mul_hi_u32 s48, s12, s1
	s_subb_u32 s2, s11, s20
	s_cmp_lg_u32 s3, 0
	v_cndmask_b32_e64 v19, 0, -1, vcc_lo
	v_cmp_lt_u32_e32 vcc_lo, 4, v17
	s_subb_u32 s3, s2, 0
	s_mul_hi_u32 s26, s12, s0
	s_cmp_eq_u32 s3, 0
	s_mul_i32 s50, s13, s1
	v_cndmask_b32_e64 v20, 0, -1, vcc_lo
	s_cselect_b32 vcc_lo, -1, 0
	s_cmp_eq_u32 s2, 0
	v_add_nc_u32_e32 v21, -5, v17
	s_mul_hi_u32 s49, s13, s1
	v_cndmask_b32_e32 v20, -1, v20, vcc_lo
	s_cselect_b32 vcc_lo, -1, 0
	s_add_u32 s2, s48, s27
	s_addc_u32 s3, 0, s26
	s_mul_hi_u32 s28, s13, s0
	s_add_u32 s2, s2, s50
	s_mul_i32 s29, s13, s0
	s_addc_u32 s2, s3, s49
	v_cndmask_b32_e32 v19, -1, v19, vcc_lo
	s_addc_u32 s3, s28, 0
	v_cmp_ne_u32_e32 vcc_lo, 0, v20
	s_add_u32 s2, s2, s29
	s_addc_u32 s3, 0, s3
	s_mul_hi_u32 s20, s2, 5
	s_mul_i32 s2, s2, 5
	v_cndmask_b32_e32 v17, v17, v21, vcc_lo
	v_cmp_ne_u32_e32 vcc_lo, 0, v19
	v_sub_co_u32 v19, s2, s12, s2
	s_mul_i32 s3, s3, 5
	s_mul_i32 s31, s14, s0
	v_cndmask_b32_e32 v17, v18, v17, vcc_lo
	s_add_i32 s20, s20, s3
	v_sub_co_u32 v18, s3, v19, 5
	v_cmp_lt_u32_e32 vcc_lo, 4, v19
	s_cmp_lg_u32 s2, 0
	s_mul_hi_u32 s51, s14, s1
	s_subb_u32 s2, s13, s20
	s_cmp_lg_u32 s3, 0
	v_cndmask_b32_e64 v20, 0, -1, vcc_lo
	v_cmp_lt_u32_e32 vcc_lo, 4, v18
	s_subb_u32 s3, s2, 0
	s_mul_hi_u32 s30, s14, s0
	s_cmp_eq_u32 s3, 0
	v_add_nc_u32_e32 v22, -5, v18
	v_cndmask_b32_e64 v21, 0, -1, vcc_lo
	s_cselect_b32 vcc_lo, -1, 0
	s_cmp_eq_u32 s2, 0
	s_mul_i32 s53, s15, s1
	s_mul_hi_u32 s52, s15, s1
	v_cndmask_b32_e32 v21, -1, v21, vcc_lo
	s_cselect_b32 vcc_lo, -1, 0
	s_add_u32 s2, s51, s31
	s_addc_u32 s3, 0, s30
	s_mul_hi_u32 s33, s15, s0
	s_add_u32 s2, s2, s53
	s_mul_i32 s34, s15, s0
	s_addc_u32 s2, s3, s52
	v_cndmask_b32_e32 v20, -1, v20, vcc_lo
	s_addc_u32 s3, s33, 0
	v_cmp_ne_u32_e32 vcc_lo, 0, v21
	s_add_u32 s2, s2, s34
	s_addc_u32 s3, 0, s3
	s_mul_hi_u32 s20, s2, 5
	s_mul_i32 s2, s2, 5
	v_cndmask_b32_e32 v18, v18, v22, vcc_lo
	v_cmp_ne_u32_e32 vcc_lo, 0, v20
	v_sub_co_u32 v20, s2, s14, s2
	s_mul_i32 s3, s3, 5
	s_mul_i32 s36, s16, s0
	v_cndmask_b32_e32 v18, v19, v18, vcc_lo
	s_add_i32 s20, s20, s3
	v_sub_co_u32 v19, s3, v20, 5
	v_cmp_lt_u32_e32 vcc_lo, 4, v20
	s_cmp_lg_u32 s2, 0
	s_mul_hi_u32 s54, s16, s1
	s_delay_alu instid0(VALU_DEP_2)
	v_add_nc_u32_e32 v23, -5, v19
	s_subb_u32 s2, s15, s20
	v_cndmask_b32_e64 v21, 0, -1, vcc_lo
	v_cmp_lt_u32_e32 vcc_lo, 4, v19
	s_cmp_lg_u32 s3, 0
	s_mul_hi_u32 s35, s16, s0
	s_subb_u32 s3, s2, 0
	s_mul_i32 s56, s17, s1
	v_cndmask_b32_e64 v22, 0, -1, vcc_lo
	s_cmp_eq_u32 s3, 0
	s_mul_hi_u32 s55, s17, s1
	s_cselect_b32 vcc_lo, -1, 0
	s_cmp_eq_u32 s2, 0
	v_cndmask_b32_e32 v22, -1, v22, vcc_lo
	s_cselect_b32 vcc_lo, -1, 0
	s_add_u32 s2, s54, s36
	v_cndmask_b32_e32 v21, -1, v21, vcc_lo
	s_addc_u32 s3, 0, s35
	s_mul_hi_u32 s37, s17, s0
	s_add_u32 s2, s2, s56
	s_mul_i32 s38, s17, s0
	s_addc_u32 s2, s3, s55
	s_addc_u32 s3, s37, 0
	v_cmp_ne_u32_e32 vcc_lo, 0, v22
	s_add_u32 s2, s2, s38
	s_addc_u32 s3, 0, s3
	s_mul_hi_u32 s20, s2, 5
	s_mul_i32 s2, s2, 5
	v_cndmask_b32_e32 v19, v19, v23, vcc_lo
	v_cmp_ne_u32_e32 vcc_lo, 0, v21
	v_sub_co_u32 v21, s2, s16, s2
	s_mul_i32 s3, s3, 5
	s_mul_i32 s40, s18, s0
	v_cndmask_b32_e32 v19, v20, v19, vcc_lo
	s_add_i32 s20, s20, s3
	v_sub_co_u32 v20, s3, v21, 5
	v_cmp_lt_u32_e32 vcc_lo, 4, v21
	s_cmp_lg_u32 s2, 0
	s_mul_hi_u32 s57, s18, s1
	s_subb_u32 s2, s17, s20
	s_cmp_lg_u32 s3, 0
	v_cndmask_b32_e64 v22, 0, -1, vcc_lo
	v_cmp_lt_u32_e32 vcc_lo, 4, v20
	s_subb_u32 s3, s2, 0
	s_mul_hi_u32 s39, s18, s0
	s_cmp_eq_u32 s3, 0
	v_add_nc_u32_e32 v24, -5, v20
	v_cndmask_b32_e64 v23, 0, -1, vcc_lo
	s_cselect_b32 vcc_lo, -1, 0
	s_cmp_eq_u32 s2, 0
	s_mul_hi_u32 s58, s19, s1
	s_mul_i32 s1, s19, s1
	v_cndmask_b32_e32 v23, -1, v23, vcc_lo
	s_cselect_b32 vcc_lo, -1, 0
	s_add_u32 s2, s57, s40
	s_addc_u32 s3, 0, s39
	s_mul_hi_u32 s41, s19, s0
	s_add_u32 s1, s2, s1
	s_mul_i32 s0, s19, s0
	s_addc_u32 s1, s3, s58
	v_cndmask_b32_e32 v22, -1, v22, vcc_lo
	s_addc_u32 s2, s41, 0
	v_cmp_ne_u32_e32 vcc_lo, 0, v23
	s_add_u32 s0, s1, s0
	s_addc_u32 s1, 0, s2
	s_mul_hi_u32 s2, s0, 5
	s_mul_i32 s0, s0, 5
	v_cndmask_b32_e32 v20, v20, v24, vcc_lo
	v_cmp_ne_u32_e32 vcc_lo, 0, v22
	v_sub_co_u32 v22, s0, s18, s0
	s_mul_i32 s1, s1, 5
	s_delay_alu instid0(VALU_DEP_3) | instskip(SKIP_1) | instid1(VALU_DEP_2)
	v_cndmask_b32_e32 v20, v21, v20, vcc_lo
	s_add_i32 s2, s2, s1
	v_sub_co_u32 v21, s1, v22, 5
	v_cmp_lt_u32_e32 vcc_lo, 4, v22
	s_cmp_lg_u32 s0, 0
	s_delay_alu instid0(VALU_DEP_2)
	v_add_nc_u32_e32 v25, -5, v21
	s_subb_u32 s0, s19, s2
	v_cndmask_b32_e64 v23, 0, -1, vcc_lo
	v_cmp_lt_u32_e32 vcc_lo, 4, v21
	s_cmp_lg_u32 s1, 0
	s_subb_u32 s1, s0, 0
	v_cndmask_b32_e64 v24, 0, -1, vcc_lo
	s_cmp_eq_u32 s1, 0
	s_cselect_b32 vcc_lo, -1, 0
	s_cmp_eq_u32 s0, 0
	s_delay_alu instid0(VALU_DEP_1)
	v_cndmask_b32_e32 v24, -1, v24, vcc_lo
	s_cselect_b32 vcc_lo, -1, 0
	s_add_u32 s8, s8, 1
	v_cndmask_b32_e32 v23, -1, v23, vcc_lo
	s_addc_u32 s9, s9, 0
	v_cmp_ne_u32_e32 vcc_lo, 0, v24
	s_add_u32 s10, s10, 1
	s_addc_u32 s11, s11, 0
	s_add_u32 s12, s12, 1
	s_addc_u32 s13, s13, 0
	v_cndmask_b32_e32 v21, v21, v25, vcc_lo
	v_cmp_ne_u32_e32 vcc_lo, 0, v23
	s_add_u32 s14, s14, 1
	s_addc_u32 s15, s15, 0
	s_add_u32 s4, s4, -1
	s_addc_u32 s5, s5, -1
	v_cndmask_b32_e32 v21, v22, v21, vcc_lo
	s_add_u32 s16, s16, 1
	s_addc_u32 s17, s17, 0
	s_add_u32 s18, s18, 1
	s_addc_u32 s19, s19, 0
	v_cmp_eq_u32_e64 s1, 1, v21
	v_cmp_eq_u32_e64 s2, 0, v21
	;; [unrolled: 1-line block ×3, first 2 shown]
	v_cmp_eq_u32_e32 vcc_lo, 3, v21
	v_cmp_eq_u32_e64 s0, 2, v21
	s_cmp_eq_u64 s[4:5], 0
	s_waitcnt vmcnt(0)
	v_cndmask_b32_e64 v13, v13, v15, s3
	v_cndmask_b32_e64 v1, v1, v15, s1
	v_cndmask_b32_e64 v0, v0, v15, s2
	v_cmp_eq_u32_e64 s3, 1, v16
	v_cndmask_b32_e32 v3, v3, v15, vcc_lo
	v_cndmask_b32_e64 v2, v2, v15, s0
	v_cmp_eq_u32_e32 vcc_lo, 1, v20
	v_cmp_eq_u32_e64 s0, 1, v19
	v_cndmask_b32_e64 v15, v0, v1, s3
	v_cmp_eq_u32_e64 s3, 2, v16
	v_cmp_eq_u32_e64 s1, 1, v18
	v_cndmask_b32_e32 v21, v0, v1, vcc_lo
	v_cmp_eq_u32_e32 vcc_lo, 2, v20
	v_cmp_eq_u32_e64 s2, 1, v17
	v_cndmask_b32_e64 v15, v15, v2, s3
	v_cmp_eq_u32_e64 s3, 3, v16
	v_cndmask_b32_e64 v22, v0, v1, s0
	v_cmp_eq_u32_e64 s0, 2, v19
	v_cndmask_b32_e32 v21, v21, v2, vcc_lo
	v_cmp_eq_u32_e32 vcc_lo, 3, v20
	v_cndmask_b32_e64 v15, v15, v3, s3
	v_cmp_eq_u32_e64 s3, 4, v16
	v_cndmask_b32_e64 v23, v0, v1, s1
	v_cmp_eq_u32_e64 s1, 2, v18
	;; [unrolled: 2-line block ×4, first 2 shown]
	v_cndmask_b32_e32 v21, v21, v3, vcc_lo
	v_cmp_eq_u32_e32 vcc_lo, 4, v20
	v_cndmask_b32_e64 v15, v15, v13, s3
	v_cndmask_b32_e64 v23, v23, v2, s1
	v_cmp_eq_u32_e64 s1, 3, v18
	v_cndmask_b32_e64 v24, v24, v2, s2
	v_cmp_eq_u32_e64 s2, 3, v17
	v_cndmask_b32_e32 v16, v21, v13, vcc_lo
	v_cndmask_b32_e64 v20, v22, v3, s0
	v_cmp_eq_u32_e64 s0, 4, v19
	v_fma_f32 v15, v4, v15, 0
	v_cndmask_b32_e64 v19, v23, v3, s1
	v_cmp_eq_u32_e64 s1, 4, v18
	v_cndmask_b32_e64 v18, v24, v3, s2
	v_cmp_eq_u32_e64 s2, 4, v17
	v_cndmask_b32_e64 v17, v20, v13, s0
	v_fmac_f32_e32 v15, v5, v16
	v_cndmask_b32_e64 v19, v19, v13, s1
	s_delay_alu instid0(VALU_DEP_4) | instskip(NEXT) | instid1(VALU_DEP_3)
	v_cndmask_b32_e64 v18, v18, v13, s2
	v_fmac_f32_e32 v15, v6, v17
	s_delay_alu instid0(VALU_DEP_1) | instskip(NEXT) | instid1(VALU_DEP_1)
	v_fmac_f32_e32 v15, v7, v19
	v_fmac_f32_e32 v15, v14, v18
	s_delay_alu instid0(VALU_DEP_1) | instskip(NEXT) | instid1(VALU_DEP_1)
	v_add_f32_e32 v15, v12, v15
	v_mul_f32_e32 v16, 0xbfb8aa3b, v15
	v_cmp_nlt_f32_e32 vcc_lo, 0x42ce8ed0, v15
	s_delay_alu instid0(VALU_DEP_2) | instskip(SKIP_1) | instid1(VALU_DEP_1)
	v_fma_f32 v17, 0xbfb8aa3b, v15, -v16
	v_rndne_f32_e32 v18, v16
	v_dual_fmac_f32 v17, 0xb2a5705f, v15 :: v_dual_sub_f32 v16, v16, v18
	s_delay_alu instid0(VALU_DEP_1) | instskip(SKIP_1) | instid1(VALU_DEP_2)
	v_add_f32_e32 v16, v16, v17
	v_cvt_i32_f32_e32 v17, v18
	v_exp_f32_e32 v16, v16
	s_waitcnt_depctr 0xfff
	v_ldexp_f32 v16, v16, v17
	s_delay_alu instid0(VALU_DEP_1) | instskip(SKIP_1) | instid1(VALU_DEP_2)
	v_cndmask_b32_e32 v16, 0, v16, vcc_lo
	v_cmp_ngt_f32_e32 vcc_lo, 0xc2b17218, v15
	v_cndmask_b32_e32 v16, 0x7f800000, v16, vcc_lo
	s_delay_alu instid0(VALU_DEP_1) | instskip(NEXT) | instid1(VALU_DEP_1)
	v_add_f32_e32 v16, 1.0, v16
	v_div_scale_f32 v17, null, v16, v16, v15
	v_div_scale_f32 v19, vcc_lo, v15, v16, v15
	s_delay_alu instid0(VALU_DEP_2) | instskip(SKIP_2) | instid1(VALU_DEP_1)
	v_rcp_f32_e32 v18, v17
	s_waitcnt_depctr 0xfff
	v_fma_f32 v20, -v17, v18, 1.0
	v_fmac_f32_e32 v18, v20, v18
	s_delay_alu instid0(VALU_DEP_1) | instskip(NEXT) | instid1(VALU_DEP_1)
	v_mul_f32_e32 v20, v19, v18
	v_fma_f32 v21, -v17, v20, v19
	s_delay_alu instid0(VALU_DEP_1) | instskip(NEXT) | instid1(VALU_DEP_1)
	v_fmac_f32_e32 v20, v21, v18
	v_fma_f32 v17, -v17, v20, v19
	s_delay_alu instid0(VALU_DEP_1) | instskip(NEXT) | instid1(VALU_DEP_1)
	v_div_fmas_f32 v17, v17, v18, v20
	v_div_fixup_f32 v15, v17, v16, v15
	global_store_b32 v[10:11], v15, off
	v_add_co_u32 v10, vcc_lo, v10, s6
	v_add_co_ci_u32_e32 v11, vcc_lo, s7, v11, vcc_lo
	s_cbranch_scc0 .LBB4_5
.LBB4_6:
	s_nop 0
	s_sendmsg sendmsg(MSG_DEALLOC_VGPRS)
	s_endpgm
	.section	.rodata,"a",@progbits
	.p2align	6, 0x0
	.amdhsa_kernel _ZL12ssm_conv_f32ILb1ELm128ELm5EEvPKfS1_S1_iiiiPfiiil
		.amdhsa_group_segment_fixed_size 0
		.amdhsa_private_segment_fixed_size 0
		.amdhsa_kernarg_size 72
		.amdhsa_user_sgpr_count 14
		.amdhsa_user_sgpr_dispatch_ptr 0
		.amdhsa_user_sgpr_queue_ptr 0
		.amdhsa_user_sgpr_kernarg_segment_ptr 1
		.amdhsa_user_sgpr_dispatch_id 0
		.amdhsa_user_sgpr_private_segment_size 0
		.amdhsa_wavefront_size32 1
		.amdhsa_uses_dynamic_stack 0
		.amdhsa_enable_private_segment 0
		.amdhsa_system_sgpr_workgroup_id_x 1
		.amdhsa_system_sgpr_workgroup_id_y 1
		.amdhsa_system_sgpr_workgroup_id_z 0
		.amdhsa_system_sgpr_workgroup_info 0
		.amdhsa_system_vgpr_workitem_id 0
		.amdhsa_next_free_vgpr 26
		.amdhsa_next_free_sgpr 59
		.amdhsa_reserve_vcc 1
		.amdhsa_float_round_mode_32 0
		.amdhsa_float_round_mode_16_64 0
		.amdhsa_float_denorm_mode_32 3
		.amdhsa_float_denorm_mode_16_64 3
		.amdhsa_dx10_clamp 1
		.amdhsa_ieee_mode 1
		.amdhsa_fp16_overflow 0
		.amdhsa_workgroup_processor_mode 1
		.amdhsa_memory_ordered 1
		.amdhsa_forward_progress 0
		.amdhsa_shared_vgpr_count 0
		.amdhsa_exception_fp_ieee_invalid_op 0
		.amdhsa_exception_fp_denorm_src 0
		.amdhsa_exception_fp_ieee_div_zero 0
		.amdhsa_exception_fp_ieee_overflow 0
		.amdhsa_exception_fp_ieee_underflow 0
		.amdhsa_exception_fp_ieee_inexact 0
		.amdhsa_exception_int_div_zero 0
	.end_amdhsa_kernel
	.section	.text._ZL12ssm_conv_f32ILb1ELm128ELm5EEvPKfS1_S1_iiiiPfiiil,"axG",@progbits,_ZL12ssm_conv_f32ILb1ELm128ELm5EEvPKfS1_S1_iiiiPfiiil,comdat
.Lfunc_end4:
	.size	_ZL12ssm_conv_f32ILb1ELm128ELm5EEvPKfS1_S1_iiiiPfiiil, .Lfunc_end4-_ZL12ssm_conv_f32ILb1ELm128ELm5EEvPKfS1_S1_iiiiPfiiil
                                        ; -- End function
	.section	.AMDGPU.csdata,"",@progbits
; Kernel info:
; codeLenInByte = 2736
; NumSgprs: 61
; NumVgprs: 26
; ScratchSize: 0
; MemoryBound: 0
; FloatMode: 240
; IeeeMode: 1
; LDSByteSize: 0 bytes/workgroup (compile time only)
; SGPRBlocks: 7
; VGPRBlocks: 3
; NumSGPRsForWavesPerEU: 61
; NumVGPRsForWavesPerEU: 26
; Occupancy: 16
; WaveLimiterHint : 0
; COMPUTE_PGM_RSRC2:SCRATCH_EN: 0
; COMPUTE_PGM_RSRC2:USER_SGPR: 14
; COMPUTE_PGM_RSRC2:TRAP_HANDLER: 0
; COMPUTE_PGM_RSRC2:TGID_X_EN: 1
; COMPUTE_PGM_RSRC2:TGID_Y_EN: 1
; COMPUTE_PGM_RSRC2:TGID_Z_EN: 0
; COMPUTE_PGM_RSRC2:TIDIG_COMP_CNT: 0
	.section	.text._ZL23ssm_conv_long_token_f32ILb1ELm128ELm5ELl32EEvPKfS1_S1_iiiiPfiiil,"axG",@progbits,_ZL23ssm_conv_long_token_f32ILb1ELm128ELm5ELl32EEvPKfS1_S1_iiiiPfiiil,comdat
	.globl	_ZL23ssm_conv_long_token_f32ILb1ELm128ELm5ELl32EEvPKfS1_S1_iiiiPfiiil ; -- Begin function _ZL23ssm_conv_long_token_f32ILb1ELm128ELm5ELl32EEvPKfS1_S1_iiiiPfiiil
	.p2align	8
	.type	_ZL23ssm_conv_long_token_f32ILb1ELm128ELm5ELl32EEvPKfS1_S1_iiiiPfiiil,@function
_ZL23ssm_conv_long_token_f32ILb1ELm128ELm5ELl32EEvPKfS1_S1_iiiiPfiiil: ; @_ZL23ssm_conv_long_token_f32ILb1ELm128ELm5ELl32EEvPKfS1_S1_iiiiPfiiil
; %bb.0:
	v_mul_u32_u24_e32 v1, 0x71d, v0
	s_clause 0x1
	s_load_b128 s[4:7], s[0:1], 0x18
	s_load_b64 s[2:3], s[0:1], 0x0
	s_mov_b32 s8, s15
	v_lshrrev_b32_e32 v14, 16, v1
	s_delay_alu instid0(VALU_DEP_1) | instskip(NEXT) | instid1(VALU_DEP_1)
	v_mul_lo_u16 v1, v14, 36
	v_sub_nc_u16 v12, v0, v1
	s_delay_alu instid0(VALU_DEP_1) | instskip(SKIP_2) | instid1(SALU_CYCLE_1)
	v_or_b32_e32 v1, 0x80, v12
	s_waitcnt lgkmcnt(0)
	s_mul_i32 s6, s13, s6
	s_ashr_i32 s9, s6, 31
	s_add_u32 s10, s2, s6
	v_mul_lo_u16 v2, v1, 57
	s_addc_u32 s11, s3, s9
	s_ashr_i32 s6, s5, 2
	s_ashr_i32 s15, s14, 31
	;; [unrolled: 1-line block ×3, first 2 shown]
	v_lshrrev_b16 v17, 11, v2
	v_alignbit_b32 v18, s15, s14, 25
	s_ashr_i32 s9, s8, 31
	s_lshl_b64 s[2:3], s[14:15], 7
	s_lshl_b64 s[14:15], s[8:9], 5
	v_mul_lo_u16 v2, v17, 36
	v_mul_lo_u32 v18, v18, s5
	v_alignbit_b32 v20, s9, s8, 27
	s_mul_i32 s8, s2, s12
	s_mul_hi_u32 s9, s2, s5
	v_sub_nc_u16 v1, v1, v2
	s_add_i32 s9, s9, s8
	v_and_b32_e32 v22, 0xffff, v17
	v_mul_lo_u32 v20, v20, s4
	v_add_nc_u32_e32 v23, s9, v18
	v_and_b32_e32 v1, 0xff, v1
	s_ashr_i32 s16, s4, 31
	v_add_nc_u32_e32 v44, v14, v22
	s_mul_i32 s12, s2, s5
	s_mul_i32 s16, s14, s16
	v_or_b32_e32 v2, 0x80, v1
	s_mul_hi_u32 s17, s14, s4
	v_add_co_u32 v22, vcc_lo, s10, s12
	s_add_i32 s17, s17, s16
	s_delay_alu instid0(VALU_DEP_2) | instskip(SKIP_3) | instid1(VALU_DEP_3)
	v_mul_lo_u16 v3, v2, 57
	v_add_nc_u32_e32 v28, s17, v20
	v_add_co_ci_u32_e32 v23, vcc_lo, s11, v23, vcc_lo
	s_mul_i32 s5, s14, s4
	v_lshrrev_b16 v19, 11, v3
	s_mov_b32 s4, exec_lo
	s_delay_alu instid0(VALU_DEP_1) | instskip(NEXT) | instid1(VALU_DEP_1)
	v_mul_lo_u16 v3, v19, 36
	v_sub_nc_u16 v2, v2, v3
	s_delay_alu instid0(VALU_DEP_1) | instskip(NEXT) | instid1(VALU_DEP_1)
	v_and_b32_e32 v2, 0xff, v2
	v_or_b32_e32 v3, 0x80, v2
	s_delay_alu instid0(VALU_DEP_1) | instskip(NEXT) | instid1(VALU_DEP_1)
	v_mul_lo_u16 v4, v3, 57
	v_lshrrev_b16 v24, 11, v4
	s_delay_alu instid0(VALU_DEP_1) | instskip(NEXT) | instid1(VALU_DEP_1)
	v_mul_lo_u16 v4, v24, 36
	v_sub_nc_u16 v3, v3, v4
	s_delay_alu instid0(VALU_DEP_1) | instskip(NEXT) | instid1(VALU_DEP_1)
	v_and_b32_e32 v3, 0xff, v3
	v_or_b32_e32 v4, 0x80, v3
	s_delay_alu instid0(VALU_DEP_1) | instskip(NEXT) | instid1(VALU_DEP_1)
	v_mul_lo_u16 v5, v4, 57
	v_lshrrev_b16 v25, 11, v5
	;; [unrolled: 9-line block ×3, first 2 shown]
	s_delay_alu instid0(VALU_DEP_1) | instskip(SKIP_1) | instid1(VALU_DEP_2)
	v_mul_lo_u16 v6, v26, 36
	v_and_b32_e32 v26, 0xffff, v26
	v_sub_nc_u16 v5, v5, v6
	s_delay_alu instid0(VALU_DEP_1) | instskip(NEXT) | instid1(VALU_DEP_1)
	v_and_b32_e32 v5, 0xff, v5
	v_or_b32_e32 v6, 0x80, v5
	s_delay_alu instid0(VALU_DEP_1) | instskip(NEXT) | instid1(VALU_DEP_1)
	v_mul_lo_u16 v7, v6, 57
	v_lshrrev_b16 v31, 11, v7
	s_delay_alu instid0(VALU_DEP_1) | instskip(NEXT) | instid1(VALU_DEP_1)
	v_mul_lo_u16 v7, v31, 36
	v_sub_nc_u16 v6, v6, v7
	s_delay_alu instid0(VALU_DEP_1) | instskip(NEXT) | instid1(VALU_DEP_1)
	v_and_b32_e32 v6, 0xff, v6
	v_or_b32_e32 v7, 0x80, v6
	s_delay_alu instid0(VALU_DEP_1) | instskip(NEXT) | instid1(VALU_DEP_1)
	v_mul_lo_u16 v8, v7, 57
	v_lshrrev_b16 v33, 11, v8
	s_delay_alu instid0(VALU_DEP_1) | instskip(NEXT) | instid1(VALU_DEP_1)
	v_mul_lo_u16 v8, v33, 36
	v_sub_nc_u16 v7, v7, v8
	s_delay_alu instid0(VALU_DEP_1) | instskip(NEXT) | instid1(VALU_DEP_1)
	v_and_b32_e32 v7, 0xff, v7
	v_or_b32_e32 v8, 0x80, v7
	s_delay_alu instid0(VALU_DEP_1) | instskip(NEXT) | instid1(VALU_DEP_1)
	v_mul_lo_u16 v9, v8, 57
	v_lshrrev_b16 v36, 11, v9
	s_delay_alu instid0(VALU_DEP_1) | instskip(SKIP_1) | instid1(VALU_DEP_2)
	v_mul_lo_u16 v9, v36, 36
	v_and_b32_e32 v36, 0xffff, v36
	v_sub_nc_u16 v8, v8, v9
	s_delay_alu instid0(VALU_DEP_1) | instskip(NEXT) | instid1(VALU_DEP_1)
	v_and_b32_e32 v8, 0xff, v8
	v_or_b32_e32 v9, 0x80, v8
	s_delay_alu instid0(VALU_DEP_1) | instskip(NEXT) | instid1(VALU_DEP_1)
	v_mul_lo_u16 v10, v9, 57
	v_lshrrev_b16 v37, 11, v10
	s_delay_alu instid0(VALU_DEP_1) | instskip(NEXT) | instid1(VALU_DEP_1)
	v_mul_lo_u16 v10, v37, 36
	v_sub_nc_u16 v9, v9, v10
	s_delay_alu instid0(VALU_DEP_1) | instskip(NEXT) | instid1(VALU_DEP_1)
	v_and_b32_e32 v9, 0xff, v9
	v_or_b32_e32 v10, 0x80, v9
	s_delay_alu instid0(VALU_DEP_1) | instskip(NEXT) | instid1(VALU_DEP_1)
	v_mul_lo_u16 v11, v10, 57
	v_lshrrev_b16 v40, 11, v11
	s_delay_alu instid0(VALU_DEP_1) | instskip(NEXT) | instid1(VALU_DEP_1)
	v_mul_lo_u16 v11, v40, 36
	;; [unrolled: 9-line block ×3, first 2 shown]
	v_sub_nc_u16 v11, v11, v13
	s_delay_alu instid0(VALU_DEP_1) | instskip(NEXT) | instid1(VALU_DEP_1)
	v_and_b32_e32 v11, 0xff, v11
	v_or_b32_e32 v13, 0x80, v11
	s_delay_alu instid0(VALU_DEP_1) | instskip(NEXT) | instid1(VALU_DEP_1)
	v_mul_lo_u16 v15, v13, 57
	v_lshrrev_b16 v42, 11, v15
	v_and_b32_e32 v15, 0xffff, v12
	s_delay_alu instid0(VALU_DEP_2) | instskip(NEXT) | instid1(VALU_DEP_1)
	v_mul_lo_u16 v12, v42, 36
	v_sub_nc_u16 v12, v13, v12
	s_delay_alu instid0(VALU_DEP_1) | instskip(NEXT) | instid1(VALU_DEP_1)
	v_and_b32_e32 v16, 0xff, v12
	v_or_b32_e32 v21, 0x80, v16
	v_mad_u64_u32 v[12:13], null, s6, v14, v[15:16]
	v_mad_u32_u24 v14, v14, 36, v15
	s_delay_alu instid0(VALU_DEP_3) | instskip(NEXT) | instid1(VALU_DEP_2)
	v_mul_lo_u16 v13, v21, 57
	v_lshl_add_u32 v14, v14, 2, 0
	s_delay_alu instid0(VALU_DEP_2) | instskip(SKIP_1) | instid1(VALU_DEP_2)
	v_lshrrev_b16 v43, 11, v13
	v_ashrrev_i32_e32 v13, 31, v12
	v_mul_lo_u16 v27, v43, 36
	s_delay_alu instid0(VALU_DEP_2) | instskip(SKIP_2) | instid1(VALU_DEP_4)
	v_lshlrev_b64 v[17:18], 2, v[12:13]
	v_and_b32_e32 v12, 0xffff, v19
	v_mad_u64_u32 v[19:20], null, v44, s6, v[1:2]
	v_sub_nc_u16 v13, v21, v27
	v_mad_u32_u24 v1, v44, 36, v1
	s_delay_alu instid0(VALU_DEP_4) | instskip(SKIP_1) | instid1(VALU_DEP_4)
	v_add_nc_u32_e32 v45, v44, v12
	v_add_co_u32 v12, vcc_lo, v22, s5
	v_and_b32_e32 v21, 0xff, v13
	v_add_co_ci_u32_e32 v13, vcc_lo, v23, v28, vcc_lo
	s_delay_alu instid0(VALU_DEP_4) | instskip(NEXT) | instid1(VALU_DEP_3)
	v_mad_u64_u32 v[22:23], null, v45, s6, v[2:3]
	v_or_b32_e32 v27, 0x80, v21
	v_and_b32_e32 v23, 0xffff, v24
	v_and_b32_e32 v28, 0xffff, v25
	v_ashrrev_i32_e32 v20, 31, v19
	v_add_co_u32 v17, vcc_lo, v12, v17
	v_mul_lo_u16 v24, v27, 57
	v_add_nc_u32_e32 v47, v45, v23
	v_ashrrev_i32_e32 v23, 31, v22
	v_lshlrev_b64 v[19:20], 2, v[19:20]
	v_add_co_ci_u32_e32 v18, vcc_lo, v13, v18, vcc_lo
	v_lshrrev_b16 v46, 11, v24
	v_add_nc_u32_e32 v48, v47, v28
	v_mad_u64_u32 v[24:25], null, v47, s6, v[3:4]
	v_lshlrev_b64 v[22:23], 2, v[22:23]
	s_delay_alu instid0(VALU_DEP_4) | instskip(NEXT) | instid1(VALU_DEP_4)
	v_mul_lo_u16 v29, v46, 36
	v_add_nc_u32_e32 v49, v48, v26
	v_add_co_u32 v19, vcc_lo, v12, v19
	v_add_co_ci_u32_e32 v20, vcc_lo, v13, v20, vcc_lo
	s_delay_alu instid0(VALU_DEP_4) | instskip(NEXT) | instid1(VALU_DEP_4)
	v_sub_nc_u16 v27, v27, v29
	v_mad_u64_u32 v[29:30], null, v49, s6, v[5:6]
	v_ashrrev_i32_e32 v25, 31, v24
	v_add_co_u32 v22, vcc_lo, v12, v22
	s_delay_alu instid0(VALU_DEP_4) | instskip(SKIP_3) | instid1(VALU_DEP_4)
	v_and_b32_e32 v26, 0xff, v27
	v_mad_u64_u32 v[27:28], null, v48, s6, v[4:5]
	v_and_b32_e32 v28, 0xffff, v31
	v_lshlrev_b64 v[24:25], 2, v[24:25]
	v_or_b32_e32 v35, 0x80, v26
	v_ashrrev_i32_e32 v30, 31, v29
	v_add_co_ci_u32_e32 v23, vcc_lo, v13, v23, vcc_lo
	v_add_nc_u32_e32 v50, v49, v28
	s_delay_alu instid0(VALU_DEP_4) | instskip(SKIP_2) | instid1(VALU_DEP_4)
	v_mul_lo_u16 v34, v35, 57
	v_ashrrev_i32_e32 v28, 31, v27
	v_add_co_u32 v24, vcc_lo, v12, v24
	v_mad_u64_u32 v[31:32], null, v50, s6, v[6:7]
	v_and_b32_e32 v32, 0xffff, v33
	v_lshrrev_b16 v51, 11, v34
	v_lshlrev_b64 v[27:28], 2, v[27:28]
	v_lshlrev_b64 v[29:30], 2, v[29:30]
	v_add_co_ci_u32_e32 v25, vcc_lo, v13, v25, vcc_lo
	v_add_nc_u32_e32 v52, v50, v32
	v_mul_lo_u16 v38, v51, 36
	v_ashrrev_i32_e32 v32, 31, v31
	v_add_co_u32 v27, vcc_lo, v12, v27
	s_delay_alu instid0(VALU_DEP_4) | instskip(NEXT) | instid1(VALU_DEP_4)
	v_mad_u64_u32 v[33:34], null, v52, s6, v[7:8]
	v_sub_nc_u16 v34, v35, v38
	v_add_nc_u32_e32 v54, v52, v36
	v_and_b32_e32 v38, 0xffff, v37
	v_lshlrev_b64 v[31:32], 2, v[31:32]
	v_add_co_ci_u32_e32 v28, vcc_lo, v13, v28, vcc_lo
	v_and_b32_e32 v35, 0xff, v34
	s_delay_alu instid0(VALU_DEP_4) | instskip(SKIP_2) | instid1(VALU_DEP_4)
	v_add_nc_u32_e32 v55, v54, v38
	v_ashrrev_i32_e32 v34, 31, v33
	v_mad_u64_u32 v[36:37], null, v54, s6, v[8:9]
	v_or_b32_e32 v53, 0x80, v35
	v_add_co_u32 v29, vcc_lo, v12, v29
	s_delay_alu instid0(VALU_DEP_4) | instskip(SKIP_1) | instid1(VALU_DEP_4)
	v_lshlrev_b64 v[33:34], 2, v[33:34]
	v_add_co_ci_u32_e32 v30, vcc_lo, v13, v30, vcc_lo
	v_mul_lo_u16 v39, v53, 57
	v_add_co_u32 v31, vcc_lo, v12, v31
	v_ashrrev_i32_e32 v37, 31, v36
	v_add_co_ci_u32_e32 v32, vcc_lo, v13, v32, vcc_lo
	s_delay_alu instid0(VALU_DEP_4) | instskip(SKIP_3) | instid1(VALU_DEP_4)
	v_lshrrev_b16 v56, 11, v39
	v_mad_u64_u32 v[38:39], null, v55, s6, v[9:10]
	v_and_b32_e32 v39, 0xffff, v40
	v_add_co_u32 v33, vcc_lo, v12, v33
	v_mul_lo_u16 v57, v56, 36
	v_add_co_ci_u32_e32 v34, vcc_lo, v13, v34, vcc_lo
	s_delay_alu instid0(VALU_DEP_4) | instskip(SKIP_1) | instid1(VALU_DEP_4)
	v_add_nc_u32_e32 v64, v55, v39
	v_ashrrev_i32_e32 v39, 31, v38
	v_sub_nc_u16 v40, v53, v57
	s_clause 0x7
	global_load_b32 v53, v[17:18], off
	global_load_b32 v57, v[19:20], off
	;; [unrolled: 1-line block ×8, first 2 shown]
	v_lshlrev_b64 v[17:18], 2, v[36:37]
	v_and_b32_e32 v20, 0xffff, v41
	v_lshlrev_b64 v[24:25], 2, v[38:39]
	v_and_b32_e32 v19, 0xff, v40
	v_mad_u64_u32 v[22:23], null, v64, s6, v[10:11]
	v_add_co_u32 v17, vcc_lo, v12, v17
	v_add_co_ci_u32_e32 v18, vcc_lo, v13, v18, vcc_lo
	v_add_co_u32 v24, vcc_lo, v12, v24
	v_add_co_ci_u32_e32 v25, vcc_lo, v13, v25, vcc_lo
	s_clause 0x1
	global_load_b32 v71, v[17:18], off
	global_load_b32 v25, v[24:25], off
	v_or_b32_e32 v29, 0x80, v19
	v_add_nc_u32_e32 v65, v64, v20
	v_and_b32_e32 v20, 0xffff, v42
	v_ashrrev_i32_e32 v23, 31, v22
	v_and_b32_e32 v40, 0xffff, v56
	v_mul_lo_u16 v27, v29, 57
	v_mad_u32_u24 v15, v45, 36, v2
	v_add_nc_u32_e32 v66, v65, v20
	v_and_b32_e32 v20, 0xffff, v43
	v_lshlrev_b64 v[22:23], 2, v[22:23]
	v_lshrrev_b16 v39, 11, v27
	v_mad_u64_u32 v[27:28], null, v65, s6, v[11:12]
	s_delay_alu instid0(VALU_DEP_4) | instskip(SKIP_1) | instid1(VALU_DEP_4)
	v_add_nc_u32_e32 v43, v66, v20
	v_mad_u32_u24 v3, v47, 36, v3
	v_mul_lo_u16 v30, v39, 36
	v_and_b32_e32 v41, 0xffff, v39
	s_delay_alu instid0(VALU_DEP_4) | instskip(NEXT) | instid1(VALU_DEP_3)
	v_mad_u64_u32 v[31:32], null, v43, s6, v[21:22]
	v_sub_nc_u16 v20, v29, v30
	v_ashrrev_i32_e32 v28, 31, v27
	v_mad_u64_u32 v[29:30], null, v66, s6, v[16:17]
	v_and_b32_e32 v30, 0xffff, v46
	s_delay_alu instid0(VALU_DEP_4) | instskip(NEXT) | instid1(VALU_DEP_4)
	v_and_b32_e32 v20, 0xff, v20
	v_lshlrev_b64 v[27:28], 2, v[27:28]
	v_ashrrev_i32_e32 v32, 31, v31
	v_add_co_u32 v22, vcc_lo, v12, v22
	v_add_nc_u32_e32 v46, v43, v30
	v_or_b32_e32 v38, 0x80, v20
	v_ashrrev_i32_e32 v30, 31, v29
	v_add_co_ci_u32_e32 v23, vcc_lo, v13, v23, vcc_lo
	s_delay_alu instid0(VALU_DEP_4) | instskip(SKIP_4) | instid1(VALU_DEP_4)
	v_mad_u64_u32 v[33:34], null, v46, s6, v[26:27]
	v_and_b32_e32 v34, 0xffff, v51
	v_mul_lo_u16 v36, v38, 57
	v_lshlrev_b64 v[29:30], 2, v[29:30]
	v_add_co_u32 v27, vcc_lo, v12, v27
	v_add_nc_u32_e32 v51, v46, v34
	s_delay_alu instid0(VALU_DEP_4)
	v_lshrrev_b16 v67, 11, v36
	v_ashrrev_i32_e32 v34, 31, v33
	v_lshlrev_b64 v[31:32], 2, v[31:32]
	v_add_co_ci_u32_e32 v28, vcc_lo, v13, v28, vcc_lo
	v_mad_u64_u32 v[36:37], null, v51, s6, v[35:36]
	v_mul_lo_u16 v37, v67, 36
	v_add_nc_u32_e32 v56, v51, v40
	v_add_co_u32 v29, vcc_lo, v12, v29
	v_lshlrev_b64 v[33:34], 2, v[33:34]
	s_delay_alu instid0(VALU_DEP_4) | instskip(NEXT) | instid1(VALU_DEP_4)
	v_sub_nc_u16 v38, v38, v37
	v_mad_u64_u32 v[39:40], null, v56, s6, v[19:20]
	v_add_nc_u32_e32 v69, v56, v41
	v_ashrrev_i32_e32 v37, 31, v36
	s_delay_alu instid0(VALU_DEP_4) | instskip(SKIP_1) | instid1(VALU_DEP_4)
	v_and_b32_e32 v38, 0xff, v38
	v_add_co_ci_u32_e32 v30, vcc_lo, v13, v30, vcc_lo
	v_mad_u64_u32 v[41:42], null, v69, s6, v[20:21]
	s_delay_alu instid0(VALU_DEP_3) | instskip(SKIP_3) | instid1(VALU_DEP_4)
	v_or_b32_e32 v68, 0x80, v38
	v_and_b32_e32 v42, 0xffff, v67
	v_add_co_u32 v31, vcc_lo, v12, v31
	v_lshlrev_b64 v[36:37], 2, v[36:37]
	v_mul_lo_u16 v40, v68, 57
	s_delay_alu instid0(VALU_DEP_4) | instskip(SKIP_2) | instid1(VALU_DEP_4)
	v_add_nc_u32_e32 v72, v69, v42
	v_add_co_ci_u32_e32 v32, vcc_lo, v13, v32, vcc_lo
	v_add_co_u32 v33, vcc_lo, v12, v33
	v_lshrrev_b16 v70, 11, v40
	v_add_co_ci_u32_e32 v34, vcc_lo, v13, v34, vcc_lo
	v_mad_u64_u32 v[17:18], null, v72, s6, v[38:39]
	s_delay_alu instid0(VALU_DEP_3) | instskip(SKIP_3) | instid1(VALU_DEP_4)
	v_mul_lo_u16 v67, v70, 36
	v_and_b32_e32 v24, 0xffff, v70
	v_add_co_u32 v36, vcc_lo, v12, v36
	v_ashrrev_i32_e32 v40, 31, v39
	v_sub_nc_u16 v67, v68, v67
	s_delay_alu instid0(VALU_DEP_4) | instskip(SKIP_2) | instid1(VALU_DEP_4)
	v_add_nc_u32_e32 v68, v72, v24
	v_add_co_ci_u32_e32 v37, vcc_lo, v13, v37, vcc_lo
	v_ashrrev_i32_e32 v42, 31, v41
	v_and_b32_e32 v24, 0xff, v67
	s_clause 0x5
	global_load_b32 v67, v[22:23], off
	global_load_b32 v70, v[27:28], off
	;; [unrolled: 1-line block ×6, first 2 shown]
	v_lshlrev_b64 v[22:23], 2, v[39:40]
	v_ashrrev_i32_e32 v18, 31, v17
	v_lshlrev_b64 v[29:30], 2, v[41:42]
	s_delay_alu instid0(VALU_DEP_3) | instskip(NEXT) | instid1(VALU_DEP_3)
	v_add_co_u32 v22, vcc_lo, v12, v22
	v_lshlrev_b64 v[17:18], 2, v[17:18]
	v_add_co_ci_u32_e32 v23, vcc_lo, v13, v23, vcc_lo
	s_delay_alu instid0(VALU_DEP_4) | instskip(SKIP_1) | instid1(VALU_DEP_4)
	v_add_co_u32 v29, vcc_lo, v12, v29
	v_add_co_ci_u32_e32 v30, vcc_lo, v13, v30, vcc_lo
	v_add_co_u32 v17, vcc_lo, v12, v17
	v_add_co_ci_u32_e32 v18, vcc_lo, v13, v18, vcc_lo
	s_waitcnt vmcnt(6)
	v_mad_u64_u32 v[27:28], null, v68, s6, v[24:25]
	s_delay_alu instid0(VALU_DEP_1) | instskip(NEXT) | instid1(VALU_DEP_1)
	v_ashrrev_i32_e32 v28, 31, v27
	v_lshlrev_b64 v[27:28], 2, v[27:28]
	s_delay_alu instid0(VALU_DEP_1) | instskip(NEXT) | instid1(VALU_DEP_2)
	v_add_co_u32 v27, vcc_lo, v12, v27
	v_add_co_ci_u32_e32 v28, vcc_lo, v13, v28, vcc_lo
	s_clause 0x3
	global_load_b32 v22, v[22:23], off
	global_load_b32 v23, v[29:30], off
	;; [unrolled: 1-line block ×4, first 2 shown]
	ds_store_b32 v14, v53
	v_lshl_add_u32 v14, v1, 2, 0
	v_mad_u64_u32 v[1:2], null, v50, 36, v[6:7]
	v_mad_u32_u24 v2, v48, 36, v4
	v_mad_u32_u24 v4, v49, 36, v5
	ds_store_b32 v14, v57
	v_lshl_add_u32 v6, v3, 2, 0
	v_lshl_add_u32 v5, v15, 2, 0
	;; [unrolled: 1-line block ×4, first 2 shown]
	v_mad_u64_u32 v[1:2], null, v52, 36, v[7:8]
	v_mad_u64_u32 v[2:3], null, v54, 36, v[8:9]
	v_lshl_add_u32 v15, v4, 2, 0
	v_mad_u64_u32 v[3:4], null, v55, 36, v[9:10]
	ds_store_b32 v5, v58
	ds_store_b32 v6, v59
	;; [unrolled: 1-line block ×5, first 2 shown]
	v_lshl_add_u32 v5, v1, 2, 0
	v_or_b32_e32 v8, 0x80, v24
	v_lshl_add_u32 v6, v2, 2, 0
	v_mad_u64_u32 v[1:2], null, v64, 36, v[10:11]
	v_lshl_add_u32 v7, v3, 2, 0
	v_mad_u64_u32 v[2:3], null, v65, 36, v[11:12]
	ds_store_b32 v5, v63
	ds_store_b32 v6, v71
	;; [unrolled: 1-line block ×3, first 2 shown]
	v_lshl_add_u32 v6, v2, 2, 0
	s_waitcnt vmcnt(1)
	v_mad_u64_u32 v[3:4], null, v66, 36, v[16:17]
	v_mad_u64_u32 v[4:5], null, v43, 36, v[21:22]
	v_lshl_add_u32 v5, v1, 2, 0
	v_mad_u64_u32 v[1:2], null, v46, 36, v[26:27]
	ds_store_b32 v5, v67
	ds_store_b32 v6, v70
	v_lshl_add_u32 v7, v3, 2, 0
	v_mad_u64_u32 v[2:3], null, v51, 36, v[35:36]
	v_lshl_add_u32 v3, v4, 2, 0
	v_mul_lo_u16 v5, v8, 57
	ds_store_b32 v7, v73
	ds_store_b32 v3, v31
	v_lshl_add_u32 v7, v1, 2, 0
	v_lshl_add_u32 v9, v2, 2, 0
	v_mad_u64_u32 v[1:2], null, v56, 36, v[19:20]
	v_lshrrev_b16 v2, 11, v5
	v_mad_u64_u32 v[3:4], null, v69, 36, v[20:21]
	v_mad_u64_u32 v[4:5], null, v72, 36, v[38:39]
	;; [unrolled: 1-line block ×3, first 2 shown]
	s_delay_alu instid0(VALU_DEP_4)
	v_mul_lo_u16 v6, v2, 36
	v_and_b32_e32 v2, 0xffff, v2
	ds_store_b32 v7, v32
	ds_store_b32 v9, v33
	v_lshl_add_u32 v7, v1, 2, 0
	v_lshl_add_u32 v3, v3, 2, 0
	v_sub_nc_u16 v1, v8, v6
	v_add_nc_u32_e32 v2, v68, v2
	v_lshl_add_u32 v4, v4, 2, 0
	v_lshl_add_u32 v5, v5, 2, 0
	ds_store_b32 v7, v22
	ds_store_b32 v3, v23
	;; [unrolled: 1-line block ×3, first 2 shown]
	s_waitcnt vmcnt(0)
	ds_store_b32 v5, v18
	v_and_b32_e32 v1, 0xff, v1
	v_cmpx_gt_u32_e32 0x80, v2
	s_cbranch_execz .LBB5_2
; %bb.1:
	s_delay_alu instid0(VALU_DEP_2) | instskip(NEXT) | instid1(VALU_DEP_1)
	v_mad_u64_u32 v[3:4], null, v2, s6, v[1:2]
	v_ashrrev_i32_e32 v4, 31, v3
	s_delay_alu instid0(VALU_DEP_1) | instskip(NEXT) | instid1(VALU_DEP_1)
	v_lshlrev_b64 v[3:4], 2, v[3:4]
	v_add_co_u32 v3, vcc_lo, v12, v3
	s_delay_alu instid0(VALU_DEP_2) | instskip(SKIP_2) | instid1(VALU_DEP_1)
	v_add_co_ci_u32_e32 v4, vcc_lo, v13, v4, vcc_lo
	global_load_b32 v5, v[3:4], off
	v_mad_u64_u32 v[3:4], null, v2, 36, v[1:2]
	v_lshl_add_u32 v3, v3, 2, 0
	s_waitcnt vmcnt(0)
	ds_store_b32 v3, v5
.LBB5_2:
	s_or_b32 exec_lo, exec_lo, s4
	s_delay_alu instid0(VALU_DEP_2) | instskip(SKIP_1) | instid1(VALU_DEP_1)
	v_or_b32_e32 v1, 0x80, v1
	s_mov_b32 s4, exec_lo
	v_mul_lo_u16 v3, v1, 57
	s_delay_alu instid0(VALU_DEP_1) | instskip(NEXT) | instid1(VALU_DEP_1)
	v_lshrrev_b16 v3, 11, v3
	v_mul_lo_u16 v4, v3, 36
	v_and_b32_e32 v3, 0xffff, v3
	s_delay_alu instid0(VALU_DEP_2) | instskip(NEXT) | instid1(VALU_DEP_2)
	v_sub_nc_u16 v1, v1, v4
	v_add_nc_u32_e32 v2, v2, v3
	s_delay_alu instid0(VALU_DEP_2) | instskip(NEXT) | instid1(VALU_DEP_2)
	v_and_b32_e32 v1, 0xff, v1
	v_cmpx_gt_u32_e32 0x80, v2
	s_cbranch_execz .LBB5_4
; %bb.3:
	s_delay_alu instid0(VALU_DEP_2) | instskip(NEXT) | instid1(VALU_DEP_1)
	v_mad_u64_u32 v[3:4], null, v2, s6, v[1:2]
	v_ashrrev_i32_e32 v4, 31, v3
	s_delay_alu instid0(VALU_DEP_1) | instskip(NEXT) | instid1(VALU_DEP_1)
	v_lshlrev_b64 v[3:4], 2, v[3:4]
	v_add_co_u32 v3, vcc_lo, v12, v3
	s_delay_alu instid0(VALU_DEP_2) | instskip(SKIP_2) | instid1(VALU_DEP_1)
	v_add_co_ci_u32_e32 v4, vcc_lo, v13, v4, vcc_lo
	global_load_b32 v5, v[3:4], off
	v_mad_u64_u32 v[3:4], null, v2, 36, v[1:2]
	v_lshl_add_u32 v3, v3, 2, 0
	s_waitcnt vmcnt(0)
	ds_store_b32 v3, v5
.LBB5_4:
	s_or_b32 exec_lo, exec_lo, s4
	s_delay_alu instid0(VALU_DEP_2) | instskip(SKIP_1) | instid1(VALU_DEP_1)
	v_or_b32_e32 v1, 0x80, v1
	s_mov_b32 s4, exec_lo
	v_mul_lo_u16 v3, v1, 57
	s_delay_alu instid0(VALU_DEP_1) | instskip(NEXT) | instid1(VALU_DEP_1)
	v_lshrrev_b16 v3, 11, v3
	v_mul_lo_u16 v4, v3, 36
	v_and_b32_e32 v3, 0xffff, v3
	s_delay_alu instid0(VALU_DEP_2) | instskip(NEXT) | instid1(VALU_DEP_2)
	v_sub_nc_u16 v1, v1, v4
	v_add_nc_u32_e32 v2, v2, v3
	s_delay_alu instid0(VALU_DEP_2) | instskip(NEXT) | instid1(VALU_DEP_2)
	;; [unrolled: 31-line block ×8, first 2 shown]
	v_and_b32_e32 v1, 0xff, v1
	v_cmpx_gt_u32_e32 0x80, v2
	s_cbranch_execz .LBB5_18
; %bb.17:
	s_delay_alu instid0(VALU_DEP_2) | instskip(NEXT) | instid1(VALU_DEP_1)
	v_mad_u64_u32 v[3:4], null, v2, s6, v[1:2]
	v_ashrrev_i32_e32 v4, 31, v3
	s_delay_alu instid0(VALU_DEP_1) | instskip(NEXT) | instid1(VALU_DEP_1)
	v_lshlrev_b64 v[3:4], 2, v[3:4]
	v_add_co_u32 v3, vcc_lo, v12, v3
	s_delay_alu instid0(VALU_DEP_2) | instskip(SKIP_2) | instid1(VALU_DEP_1)
	v_add_co_ci_u32_e32 v4, vcc_lo, v13, v4, vcc_lo
	global_load_b32 v5, v[3:4], off
	v_mad_u64_u32 v[3:4], null, v2, 36, v[1:2]
	v_lshl_add_u32 v3, v3, 2, 0
	s_waitcnt vmcnt(0)
	ds_store_b32 v3, v5
.LBB5_18:
	s_or_b32 exec_lo, exec_lo, s4
	s_clause 0x1
	s_load_b128 s[8:11], s[0:1], 0x8
	s_load_b64 s[4:5], s[0:1], 0x28
	s_mov_b32 s12, exec_lo
	v_cmpx_gt_u32_e32 0x380, v0
	s_cbranch_execz .LBB5_39
; %bb.19:
	v_or_b32_e32 v1, 0x80, v1
	s_mov_b32 s16, exec_lo
	s_delay_alu instid0(VALU_DEP_1) | instskip(NEXT) | instid1(VALU_DEP_1)
	v_mul_lo_u16 v3, v1, 57
	v_lshrrev_b16 v3, 11, v3
	s_delay_alu instid0(VALU_DEP_1) | instskip(SKIP_1) | instid1(VALU_DEP_2)
	v_mul_lo_u16 v4, v3, 36
	v_and_b32_e32 v3, 0xffff, v3
	v_sub_nc_u16 v1, v1, v4
	s_delay_alu instid0(VALU_DEP_2) | instskip(NEXT) | instid1(VALU_DEP_2)
	v_add_nc_u32_e32 v2, v2, v3
	v_and_b32_e32 v1, 0xff, v1
	s_delay_alu instid0(VALU_DEP_2)
	v_cmpx_gt_u32_e32 0x80, v2
	s_cbranch_execz .LBB5_21
; %bb.20:
	s_delay_alu instid0(VALU_DEP_2) | instskip(NEXT) | instid1(VALU_DEP_1)
	v_mad_u64_u32 v[3:4], null, v2, s6, v[1:2]
	v_ashrrev_i32_e32 v4, 31, v3
	s_delay_alu instid0(VALU_DEP_1) | instskip(NEXT) | instid1(VALU_DEP_1)
	v_lshlrev_b64 v[3:4], 2, v[3:4]
	v_add_co_u32 v3, vcc_lo, v12, v3
	s_delay_alu instid0(VALU_DEP_2) | instskip(SKIP_2) | instid1(VALU_DEP_1)
	v_add_co_ci_u32_e32 v4, vcc_lo, v13, v4, vcc_lo
	global_load_b32 v5, v[3:4], off
	v_mad_u64_u32 v[3:4], null, v2, 36, v[1:2]
	v_lshl_add_u32 v3, v3, 2, 0
	s_waitcnt vmcnt(0)
	ds_store_b32 v3, v5
.LBB5_21:
	s_or_b32 exec_lo, exec_lo, s16
	v_cmp_gt_u32_e32 vcc_lo, 0x300, v0
	s_and_b32 exec_lo, exec_lo, vcc_lo
	s_cbranch_execz .LBB5_39
; %bb.22:
	v_or_b32_e32 v1, 0x80, v1
	s_mov_b32 s16, exec_lo
	s_delay_alu instid0(VALU_DEP_1) | instskip(NEXT) | instid1(VALU_DEP_1)
	v_mul_lo_u16 v3, v1, 57
	v_lshrrev_b16 v3, 11, v3
	s_delay_alu instid0(VALU_DEP_1) | instskip(SKIP_1) | instid1(VALU_DEP_2)
	v_mul_lo_u16 v4, v3, 36
	v_and_b32_e32 v3, 0xffff, v3
	v_sub_nc_u16 v1, v1, v4
	s_delay_alu instid0(VALU_DEP_2) | instskip(NEXT) | instid1(VALU_DEP_2)
	v_add_nc_u32_e32 v2, v2, v3
	v_and_b32_e32 v1, 0xff, v1
	s_delay_alu instid0(VALU_DEP_2)
	v_cmpx_gt_u32_e32 0x80, v2
	s_cbranch_execz .LBB5_24
; %bb.23:
	s_delay_alu instid0(VALU_DEP_2) | instskip(NEXT) | instid1(VALU_DEP_1)
	v_mad_u64_u32 v[3:4], null, v2, s6, v[1:2]
	v_ashrrev_i32_e32 v4, 31, v3
	s_delay_alu instid0(VALU_DEP_1) | instskip(NEXT) | instid1(VALU_DEP_1)
	v_lshlrev_b64 v[3:4], 2, v[3:4]
	v_add_co_u32 v3, vcc_lo, v12, v3
	s_delay_alu instid0(VALU_DEP_2) | instskip(SKIP_2) | instid1(VALU_DEP_1)
	v_add_co_ci_u32_e32 v4, vcc_lo, v13, v4, vcc_lo
	global_load_b32 v5, v[3:4], off
	v_mad_u64_u32 v[3:4], null, v2, 36, v[1:2]
	v_lshl_add_u32 v3, v3, 2, 0
	s_waitcnt vmcnt(0)
	ds_store_b32 v3, v5
.LBB5_24:
	s_or_b32 exec_lo, exec_lo, s16
	v_cmp_gt_u32_e32 vcc_lo, 0x280, v0
	s_and_b32 exec_lo, exec_lo, vcc_lo
	;; [unrolled: 35-line block ×6, first 2 shown]
	s_cbranch_execz .LBB5_39
; %bb.37:
	v_or_b32_e32 v3, 0x80, v1
	s_delay_alu instid0(VALU_DEP_1) | instskip(NEXT) | instid1(VALU_DEP_1)
	v_mul_lo_u16 v1, v3, 57
	v_lshrrev_b16 v4, 11, v1
	s_delay_alu instid0(VALU_DEP_1) | instskip(NEXT) | instid1(VALU_DEP_1)
	v_and_b32_e32 v1, 0xffff, v4
	v_add_nc_u32_e32 v1, v2, v1
	s_delay_alu instid0(VALU_DEP_1)
	v_cmp_gt_u32_e32 vcc_lo, 0x80, v1
	s_and_b32 exec_lo, exec_lo, vcc_lo
	s_cbranch_execz .LBB5_39
; %bb.38:
	v_mul_lo_u16 v2, v4, 36
	s_delay_alu instid0(VALU_DEP_1) | instskip(NEXT) | instid1(VALU_DEP_1)
	v_sub_nc_u16 v2, v3, v2
	v_and_b32_e32 v2, 0xff, v2
	s_delay_alu instid0(VALU_DEP_1) | instskip(NEXT) | instid1(VALU_DEP_1)
	v_mad_u64_u32 v[3:4], null, v1, s6, v[2:3]
	v_ashrrev_i32_e32 v4, 31, v3
	s_delay_alu instid0(VALU_DEP_1) | instskip(NEXT) | instid1(VALU_DEP_1)
	v_lshlrev_b64 v[3:4], 2, v[3:4]
	v_add_co_u32 v3, vcc_lo, v12, v3
	s_delay_alu instid0(VALU_DEP_2) | instskip(SKIP_2) | instid1(VALU_DEP_1)
	v_add_co_ci_u32_e32 v4, vcc_lo, v13, v4, vcc_lo
	global_load_b32 v5, v[3:4], off
	v_mad_u64_u32 v[3:4], null, v1, 36, v[2:3]
	v_lshl_add_u32 v1, v3, 2, 0
	s_waitcnt vmcnt(0)
	ds_store_b32 v1, v5
.LBB5_39:
	s_or_b32 exec_lo, exec_lo, s12
	s_ashr_i32 s6, s7, 31
	s_mul_hi_u32 s12, s2, s7
	s_mul_i32 s6, s2, s6
	s_mul_i32 s16, s3, s7
	s_add_i32 s6, s12, s6
	s_mul_i32 s12, s2, s7
	s_add_i32 s6, s6, s16
	s_waitcnt lgkmcnt(0)
	s_add_u32 s8, s8, s12
	s_addc_u32 s6, s9, s6
	s_ashr_i32 s7, s7, 2
	s_delay_alu instid0(SALU_CYCLE_1)
	v_mul_lo_u32 v1, s7, v0
	s_barrier
	buffer_gl0_inv
	v_lshlrev_b32_e32 v9, 2, v0
	s_cmp_eq_u64 s[10:11], 0
	v_ashrrev_i32_e32 v2, 31, v1
	s_delay_alu instid0(VALU_DEP_1) | instskip(NEXT) | instid1(VALU_DEP_1)
	v_lshlrev_b64 v[1:2], 2, v[1:2]
	v_add_co_u32 v1, vcc_lo, s8, v1
	s_delay_alu instid0(VALU_DEP_2)
	v_add_co_ci_u32_e32 v2, vcc_lo, s6, v2, vcc_lo
	s_clause 0x1
	global_load_b32 v10, v[1:2], off offset:16
	global_load_b128 v[1:4], v[1:2], off
	s_cbranch_scc1 .LBB5_41
; %bb.40:
	s_lshl_b64 s[6:7], s[2:3], 2
	s_delay_alu instid0(SALU_CYCLE_1)
	s_add_u32 s6, s10, s6
	s_addc_u32 s7, s11, s7
	global_load_b32 v11, v9, s[6:7]
	s_branch .LBB5_42
.LBB5_41:
	v_mov_b32_e32 v11, 0
.LBB5_42:
	s_load_b64 s[6:7], s[0:1], 0x40
	s_waitcnt lgkmcnt(0)
	s_sub_u32 s8, s6, s14
	s_subb_u32 s9, s7, s15
	s_delay_alu instid0(SALU_CYCLE_1) | instskip(NEXT) | instid1(VALU_DEP_1)
	v_cmp_lt_i64_e64 s6, s[8:9], 1
	s_and_b32 vcc_lo, exec_lo, s6
	s_cbranch_vccnz .LBB5_49
; %bb.43:
	s_load_b128 s[20:23], s[0:1], 0x30
	v_cmp_lt_i64_e64 s0, s[8:9], 32
	v_mul_u32_u24_e32 v0, 36, v0
	s_waitcnt lgkmcnt(0)
	s_ashr_i32 s1, s21, 31
	s_ashr_i32 s11, s20, 31
	s_mul_hi_u32 s7, s14, s21
	s_mul_hi_u32 s12, s2, s20
	s_mul_i32 s1, s14, s1
	s_mul_i32 s11, s2, s11
	;; [unrolled: 1-line block ×5, first 2 shown]
	s_add_i32 s18, s7, s1
	s_add_i32 s17, s12, s11
	s_ashr_i32 s6, s21, 2
	s_ashr_i32 s15, s16, 31
	s_add_i32 s18, s18, s10
	s_add_i32 s17, s17, s3
	s_and_b32 s0, s0, exec_lo
	s_cselect_b32 s1, s9, 0
	s_cselect_b32 s0, s8, 32
	s_ashr_i32 s7, s6, 31
	v_cmp_gt_i64_e64 s1, s[0:1], 1
	s_mov_b32 s3, 0
	s_mul_i32 s19, s14, s21
	s_mul_i32 s14, s2, s20
	s_delay_alu instid0(VALU_DEP_1)
	s_and_b32 s1, s1, exec_lo
	s_cselect_b32 s20, s0, 1
	s_cmp_eq_u64 s[8:9], 1
	s_mov_b64 s[0:1], 0
	s_cbranch_scc1 .LBB5_47
; %bb.44:
	v_lshl_add_u32 v12, v0, 2, 0
	s_and_b32 s2, s20, 62
	s_lshl_b64 s[8:9], s[6:7], 2
	s_add_u32 s0, s14, s19
	s_addc_u32 s1, s17, s18
	ds_load_b32 v6, v12
	s_add_u32 s10, s4, s16
	s_addc_u32 s11, s5, s15
	s_add_u32 s0, s10, s0
	s_addc_u32 s1, s11, s1
	v_add_co_u32 v7, s0, s0, v9
	s_delay_alu instid0(VALU_DEP_1)
	v_add_co_ci_u32_e64 v8, null, s1, 0, s0
	s_lshl_b64 s[10:11], s[6:7], 3
	s_mov_b64 s[12:13], 0
.LBB5_45:                               ; =>This Inner Loop Header: Depth=1
	s_waitcnt vmcnt(0) lgkmcnt(0)
	v_fma_f32 v17, v1, v6, 0
	ds_load_2addr_b32 v[5:6], v12 offset0:1 offset1:2
	ds_load_2addr_b32 v[13:14], v12 offset0:3 offset1:4
	v_add_nc_u32_e32 v18, 8, v12
	ds_load_b32 v19, v12 offset:20
	v_add_co_u32 v15, vcc_lo, v7, s8
	v_add_co_ci_u32_e32 v16, vcc_lo, s9, v8, vcc_lo
	s_add_u32 s12, s12, 2
	s_addc_u32 s13, s13, 0
	s_delay_alu instid0(SALU_CYCLE_1) | instskip(SKIP_3) | instid1(VALU_DEP_2)
	s_cmp_lg_u64 s[2:3], s[12:13]
	s_waitcnt lgkmcnt(2)
	v_fmac_f32_e32 v17, v2, v5
	v_fma_f32 v5, v1, v5, 0
	v_dual_mov_b32 v12, v18 :: v_dual_fmac_f32 v17, v3, v6
	s_delay_alu instid0(VALU_DEP_2) | instskip(SKIP_1) | instid1(VALU_DEP_2)
	v_fmac_f32_e32 v5, v2, v6
	s_waitcnt lgkmcnt(1)
	v_fmac_f32_e32 v17, v4, v13
	s_delay_alu instid0(VALU_DEP_2) | instskip(NEXT) | instid1(VALU_DEP_1)
	v_fmac_f32_e32 v5, v3, v13
	v_fmac_f32_e32 v5, v4, v14
	s_waitcnt lgkmcnt(0)
	s_delay_alu instid0(VALU_DEP_1) | instskip(NEXT) | instid1(VALU_DEP_1)
	v_fmac_f32_e32 v5, v10, v19
	v_add_f32_e32 v5, v11, v5
	s_delay_alu instid0(VALU_DEP_1) | instskip(NEXT) | instid1(VALU_DEP_1)
	v_mul_f32_e32 v19, 0xbfb8aa3b, v5
	v_fma_f32 v20, 0xbfb8aa3b, v5, -v19
	v_fmac_f32_e32 v17, v10, v14
	v_rndne_f32_e32 v21, v19
	s_delay_alu instid0(VALU_DEP_3) | instskip(NEXT) | instid1(VALU_DEP_3)
	v_fmac_f32_e32 v20, 0xb2a5705f, v5
	v_add_f32_e32 v13, v11, v17
	s_delay_alu instid0(VALU_DEP_1) | instskip(SKIP_2) | instid1(VALU_DEP_3)
	v_mul_f32_e32 v14, 0xbfb8aa3b, v13
	v_cmp_nlt_f32_e32 vcc_lo, 0x42ce8ed0, v13
	v_cmp_ngt_f32_e64 s0, 0xc2b17218, v13
	v_fma_f32 v17, 0xbfb8aa3b, v13, -v14
	v_rndne_f32_e32 v18, v14
	s_delay_alu instid0(VALU_DEP_1) | instskip(SKIP_1) | instid1(VALU_DEP_2)
	v_dual_fmac_f32 v17, 0xb2a5705f, v13 :: v_dual_sub_f32 v14, v14, v18
	v_cvt_i32_f32_e32 v18, v18
	v_add_f32_e32 v14, v14, v17
	v_sub_f32_e32 v17, v19, v21
	v_cvt_i32_f32_e32 v19, v21
	s_delay_alu instid0(VALU_DEP_3) | instskip(NEXT) | instid1(VALU_DEP_2)
	v_exp_f32_e32 v14, v14
	v_add_f32_e32 v17, v17, v20
	s_delay_alu instid0(VALU_DEP_1) | instskip(SKIP_2) | instid1(VALU_DEP_1)
	v_exp_f32_e32 v17, v17
	s_waitcnt_depctr 0xfff
	v_ldexp_f32 v14, v14, v18
	v_cndmask_b32_e32 v14, 0, v14, vcc_lo
	v_ldexp_f32 v17, v17, v19
	v_cmp_nlt_f32_e32 vcc_lo, 0x42ce8ed0, v5
	s_delay_alu instid0(VALU_DEP_3) | instskip(NEXT) | instid1(VALU_DEP_3)
	v_cndmask_b32_e64 v14, 0x7f800000, v14, s0
	v_cndmask_b32_e32 v17, 0, v17, vcc_lo
	v_cmp_ngt_f32_e32 vcc_lo, 0xc2b17218, v5
	s_delay_alu instid0(VALU_DEP_2) | instskip(NEXT) | instid1(VALU_DEP_1)
	v_dual_add_f32 v14, 1.0, v14 :: v_dual_cndmask_b32 v17, 0x7f800000, v17
	v_div_scale_f32 v18, null, v14, v14, v13
	v_div_scale_f32 v19, vcc_lo, v13, v14, v13
	s_delay_alu instid0(VALU_DEP_3) | instskip(NEXT) | instid1(VALU_DEP_3)
	v_add_f32_e32 v17, 1.0, v17
	v_rcp_f32_e32 v20, v18
	s_delay_alu instid0(VALU_DEP_1) | instskip(SKIP_1) | instid1(VALU_DEP_2)
	v_div_scale_f32 v21, null, v17, v17, v5
	v_div_scale_f32 v22, s0, v5, v17, v5
	v_rcp_f32_e32 v23, v21
	s_waitcnt_depctr 0xfff
	v_fma_f32 v24, -v18, v20, 1.0
	s_delay_alu instid0(VALU_DEP_1) | instskip(SKIP_1) | instid1(VALU_DEP_2)
	v_fmac_f32_e32 v20, v24, v20
	v_fma_f32 v24, -v21, v23, 1.0
	v_mul_f32_e32 v25, v19, v20
	s_delay_alu instid0(VALU_DEP_2) | instskip(NEXT) | instid1(VALU_DEP_2)
	v_fmac_f32_e32 v23, v24, v23
	v_fma_f32 v24, -v18, v25, v19
	s_delay_alu instid0(VALU_DEP_1) | instskip(NEXT) | instid1(VALU_DEP_1)
	v_dual_mul_f32 v26, v22, v23 :: v_dual_fmac_f32 v25, v24, v20
	v_fma_f32 v24, -v21, v26, v22
	s_delay_alu instid0(VALU_DEP_2) | instskip(NEXT) | instid1(VALU_DEP_2)
	v_fma_f32 v18, -v18, v25, v19
	v_fmac_f32_e32 v26, v24, v23
	s_delay_alu instid0(VALU_DEP_2) | instskip(SKIP_1) | instid1(VALU_DEP_2)
	v_div_fmas_f32 v18, v18, v20, v25
	s_mov_b32 vcc_lo, s0
	v_fma_f32 v19, -v21, v26, v22
	s_delay_alu instid0(VALU_DEP_2) | instskip(NEXT) | instid1(VALU_DEP_2)
	v_div_fixup_f32 v13, v18, v14, v13
	v_div_fmas_f32 v14, v19, v23, v26
	global_store_b32 v[7:8], v13, off
	v_add_co_u32 v7, vcc_lo, v7, s10
	v_add_co_ci_u32_e32 v8, vcc_lo, s11, v8, vcc_lo
	v_div_fixup_f32 v5, v14, v17, v5
	global_store_b32 v[15:16], v5, off
	s_cbranch_scc1 .LBB5_45
; %bb.46:
	s_mov_b64 s[0:1], s[2:3]
.LBB5_47:
	s_and_b32 s2, s20, 1
	s_mov_b32 s3, 0
	s_delay_alu instid0(SALU_CYCLE_1)
	s_cmp_eq_u64 s[2:3], 0
	s_cbranch_scc1 .LBB5_49
; %bb.48:
	v_add_nc_u32_e32 v0, s0, v0
	s_add_u32 s2, s4, s16
	s_addc_u32 s3, s5, s15
	s_add_u32 s2, s2, s19
	s_mul_hi_i32 s1, s0, s6
	v_lshl_add_u32 v0, v0, 2, 0
	s_mul_i32 s0, s0, s6
	s_addc_u32 s3, s3, s18
	s_add_u32 s2, s2, s14
	s_addc_u32 s3, s3, s17
	ds_load_2addr_b32 v[5:6], v0 offset1:1
	ds_load_2addr_b32 v[7:8], v0 offset0:2 offset1:3
	ds_load_b32 v0, v0 offset:16
	s_lshl_b64 s[0:1], s[0:1], 2
	s_delay_alu instid0(SALU_CYCLE_1) | instskip(SKIP_3) | instid1(VALU_DEP_1)
	s_add_u32 s0, s0, s2
	s_addc_u32 s1, s1, s3
	s_waitcnt vmcnt(0) lgkmcnt(2)
	v_fma_f32 v1, v1, v5, 0
	v_fmac_f32_e32 v1, v2, v6
	s_waitcnt lgkmcnt(1)
	s_delay_alu instid0(VALU_DEP_1) | instskip(NEXT) | instid1(VALU_DEP_1)
	v_fmac_f32_e32 v1, v3, v7
	v_fmac_f32_e32 v1, v4, v8
	s_waitcnt lgkmcnt(0)
	s_delay_alu instid0(VALU_DEP_1) | instskip(NEXT) | instid1(VALU_DEP_1)
	v_fmac_f32_e32 v1, v10, v0
	v_add_f32_e32 v0, v11, v1
	s_delay_alu instid0(VALU_DEP_1) | instskip(NEXT) | instid1(VALU_DEP_1)
	v_mul_f32_e32 v1, 0xbfb8aa3b, v0
	v_fma_f32 v2, 0xbfb8aa3b, v0, -v1
	v_rndne_f32_e32 v3, v1
	s_delay_alu instid0(VALU_DEP_1) | instskip(SKIP_1) | instid1(VALU_DEP_2)
	v_dual_sub_f32 v1, v1, v3 :: v_dual_fmamk_f32 v2, v0, 0xb2a5705f, v2
	v_cmp_nlt_f32_e32 vcc_lo, 0x42ce8ed0, v0
	v_add_f32_e32 v1, v1, v2
	v_cvt_i32_f32_e32 v2, v3
	s_delay_alu instid0(VALU_DEP_2) | instskip(SKIP_2) | instid1(VALU_DEP_1)
	v_exp_f32_e32 v1, v1
	s_waitcnt_depctr 0xfff
	v_ldexp_f32 v1, v1, v2
	v_cndmask_b32_e32 v1, 0, v1, vcc_lo
	v_cmp_ngt_f32_e32 vcc_lo, 0xc2b17218, v0
	s_delay_alu instid0(VALU_DEP_2) | instskip(NEXT) | instid1(VALU_DEP_1)
	v_cndmask_b32_e32 v1, 0x7f800000, v1, vcc_lo
	v_add_f32_e32 v1, 1.0, v1
	s_delay_alu instid0(VALU_DEP_1) | instskip(SKIP_1) | instid1(VALU_DEP_2)
	v_div_scale_f32 v2, null, v1, v1, v0
	v_div_scale_f32 v5, vcc_lo, v0, v1, v0
	v_rcp_f32_e32 v3, v2
	s_waitcnt_depctr 0xfff
	v_fma_f32 v4, -v2, v3, 1.0
	s_delay_alu instid0(VALU_DEP_1) | instskip(NEXT) | instid1(VALU_DEP_1)
	v_fmac_f32_e32 v3, v4, v3
	v_mul_f32_e32 v4, v5, v3
	s_delay_alu instid0(VALU_DEP_1) | instskip(NEXT) | instid1(VALU_DEP_1)
	v_fma_f32 v6, -v2, v4, v5
	v_fmac_f32_e32 v4, v6, v3
	s_delay_alu instid0(VALU_DEP_1) | instskip(NEXT) | instid1(VALU_DEP_1)
	v_fma_f32 v2, -v2, v4, v5
	v_div_fmas_f32 v2, v2, v3, v4
	s_delay_alu instid0(VALU_DEP_1)
	v_div_fixup_f32 v0, v2, v1, v0
	global_store_b32 v9, v0, s[0:1]
.LBB5_49:
	s_nop 0
	s_sendmsg sendmsg(MSG_DEALLOC_VGPRS)
	s_endpgm
	.section	.rodata,"a",@progbits
	.p2align	6, 0x0
	.amdhsa_kernel _ZL23ssm_conv_long_token_f32ILb1ELm128ELm5ELl32EEvPKfS1_S1_iiiiPfiiil
		.amdhsa_group_segment_fixed_size 0
		.amdhsa_private_segment_fixed_size 0
		.amdhsa_kernarg_size 72
		.amdhsa_user_sgpr_count 13
		.amdhsa_user_sgpr_dispatch_ptr 0
		.amdhsa_user_sgpr_queue_ptr 0
		.amdhsa_user_sgpr_kernarg_segment_ptr 1
		.amdhsa_user_sgpr_dispatch_id 0
		.amdhsa_user_sgpr_private_segment_size 0
		.amdhsa_wavefront_size32 1
		.amdhsa_uses_dynamic_stack 0
		.amdhsa_enable_private_segment 0
		.amdhsa_system_sgpr_workgroup_id_x 1
		.amdhsa_system_sgpr_workgroup_id_y 1
		.amdhsa_system_sgpr_workgroup_id_z 1
		.amdhsa_system_sgpr_workgroup_info 0
		.amdhsa_system_vgpr_workitem_id 0
		.amdhsa_next_free_vgpr 74
		.amdhsa_next_free_sgpr 24
		.amdhsa_reserve_vcc 1
		.amdhsa_float_round_mode_32 0
		.amdhsa_float_round_mode_16_64 0
		.amdhsa_float_denorm_mode_32 3
		.amdhsa_float_denorm_mode_16_64 3
		.amdhsa_dx10_clamp 1
		.amdhsa_ieee_mode 1
		.amdhsa_fp16_overflow 0
		.amdhsa_workgroup_processor_mode 1
		.amdhsa_memory_ordered 1
		.amdhsa_forward_progress 0
		.amdhsa_shared_vgpr_count 0
		.amdhsa_exception_fp_ieee_invalid_op 0
		.amdhsa_exception_fp_denorm_src 0
		.amdhsa_exception_fp_ieee_div_zero 0
		.amdhsa_exception_fp_ieee_overflow 0
		.amdhsa_exception_fp_ieee_underflow 0
		.amdhsa_exception_fp_ieee_inexact 0
		.amdhsa_exception_int_div_zero 0
	.end_amdhsa_kernel
	.section	.text._ZL23ssm_conv_long_token_f32ILb1ELm128ELm5ELl32EEvPKfS1_S1_iiiiPfiiil,"axG",@progbits,_ZL23ssm_conv_long_token_f32ILb1ELm128ELm5ELl32EEvPKfS1_S1_iiiiPfiiil,comdat
.Lfunc_end5:
	.size	_ZL23ssm_conv_long_token_f32ILb1ELm128ELm5ELl32EEvPKfS1_S1_iiiiPfiiil, .Lfunc_end5-_ZL23ssm_conv_long_token_f32ILb1ELm128ELm5ELl32EEvPKfS1_S1_iiiiPfiiil
                                        ; -- End function
	.section	.AMDGPU.csdata,"",@progbits
; Kernel info:
; codeLenInByte = 7228
; NumSgprs: 26
; NumVgprs: 74
; ScratchSize: 0
; MemoryBound: 0
; FloatMode: 240
; IeeeMode: 1
; LDSByteSize: 0 bytes/workgroup (compile time only)
; SGPRBlocks: 3
; VGPRBlocks: 9
; NumSGPRsForWavesPerEU: 26
; NumVGPRsForWavesPerEU: 74
; Occupancy: 16
; WaveLimiterHint : 0
; COMPUTE_PGM_RSRC2:SCRATCH_EN: 0
; COMPUTE_PGM_RSRC2:USER_SGPR: 13
; COMPUTE_PGM_RSRC2:TRAP_HANDLER: 0
; COMPUTE_PGM_RSRC2:TGID_X_EN: 1
; COMPUTE_PGM_RSRC2:TGID_Y_EN: 1
; COMPUTE_PGM_RSRC2:TGID_Z_EN: 1
; COMPUTE_PGM_RSRC2:TIDIG_COMP_CNT: 0
	.section	.text._ZL12ssm_conv_f32ILb1ELm128ELm9EEvPKfS1_S1_iiiiPfiiil,"axG",@progbits,_ZL12ssm_conv_f32ILb1ELm128ELm9EEvPKfS1_S1_iiiiPfiiil,comdat
	.globl	_ZL12ssm_conv_f32ILb1ELm128ELm9EEvPKfS1_S1_iiiiPfiiil ; -- Begin function _ZL12ssm_conv_f32ILb1ELm128ELm9EEvPKfS1_S1_iiiiPfiiil
	.p2align	8
	.type	_ZL12ssm_conv_f32ILb1ELm128ELm9EEvPKfS1_S1_iiiiPfiiil,@function
_ZL12ssm_conv_f32ILb1ELm128ELm9EEvPKfS1_S1_iiiiPfiiil: ; @_ZL12ssm_conv_f32ILb1ELm128ELm9EEvPKfS1_S1_iiiiPfiiil
; %bb.0:
	s_load_b64 s[4:5], s[0:1], 0x10
	s_mov_b32 s2, s15
	s_ashr_i32 s3, s15, 31
	v_lshlrev_b32_e32 v19, 2, v0
	s_lshl_b64 s[18:19], s[2:3], 7
	s_waitcnt lgkmcnt(0)
	s_cmp_eq_u64 s[4:5], 0
	s_cbranch_scc1 .LBB6_2
; %bb.1:
	s_lshl_b64 s[6:7], s[18:19], 2
	s_delay_alu instid0(SALU_CYCLE_1)
	s_add_u32 s4, s4, s6
	s_addc_u32 s5, s5, s7
	global_load_b32 v21, v19, s[4:5]
	s_load_b64 s[12:13], s[0:1], 0x40
	s_waitcnt lgkmcnt(0)
	v_cmp_lt_i64_e64 s4, s[12:13], 1
	s_delay_alu instid0(VALU_DEP_1)
	s_and_b32 vcc_lo, exec_lo, s4
	s_cbranch_vccz .LBB6_3
	s_branch .LBB6_6
.LBB6_2:
	v_mov_b32_e32 v21, 0
	s_load_b64 s[12:13], s[0:1], 0x40
	s_waitcnt lgkmcnt(0)
	v_cmp_lt_i64_e64 s4, s[12:13], 1
	s_delay_alu instid0(VALU_DEP_1)
	s_and_b32 vcc_lo, exec_lo, s4
	s_cbranch_vccnz .LBB6_6
.LBB6_3:
	s_clause 0x1
	s_load_b128 s[8:11], s[0:1], 0x1c
	s_load_b128 s[4:7], s[0:1], 0x30
	v_alignbit_b32 v1, s3, s2, 25
	s_clause 0x1
	s_load_b64 s[16:17], s[0:1], 0x28
	s_load_b128 s[0:3], s[0:1], 0x0
	s_waitcnt lgkmcnt(0)
	s_mul_i32 s7, s14, s9
	s_ashr_i32 s9, s8, 31
	s_ashr_i32 s15, s10, 31
	s_mul_hi_u32 s22, s18, s8
	s_mul_i32 s25, s18, s9
	s_mul_hi_u32 s20, s18, s10
	s_mul_i32 s23, s19, s8
	s_mul_i32 s6, s14, s6
	s_mul_i32 s15, s18, s15
	s_add_i32 s22, s22, s25
	s_ashr_i32 s21, s10, 2
	s_ashr_i32 s14, s7, 31
	;; [unrolled: 1-line block ×3, first 2 shown]
	s_add_i32 s25, s20, s15
	s_add_i32 s20, s22, s23
	s_add_u32 s22, s16, s6
	s_addc_u32 s23, s17, s9
	s_ashr_i32 s15, s4, 31
	s_mul_hi_u32 s24, s18, s4
	s_mul_i32 s15, s18, s15
	s_mul_i32 s19, s19, s4
	s_add_i32 s15, s24, s15
	s_mul_i32 s4, s18, s4
	s_add_i32 s15, s15, s19
	s_add_u32 s22, s22, s4
	s_addc_u32 s23, s23, s15
	v_mul_lo_u32 v3, v1, s10
	s_mul_i32 s11, s18, s8
	v_mul_lo_u32 v1, s21, v0
	s_add_u32 s19, s0, s7
	s_addc_u32 s21, s1, s14
	s_add_u32 s19, s19, s11
	s_addc_u32 s21, s21, s20
	s_ashr_i32 s8, s8, 2
	v_add_nc_u32_e32 v4, s25, v3
	v_mul_lo_u32 v0, s8, v0
	v_ashrrev_i32_e32 v2, 31, v1
	s_mul_i32 s8, s18, s10
	s_cmp_eq_u64 s[12:13], 1
	v_add_co_u32 v5, vcc_lo, s2, s8
	s_delay_alu instid0(VALU_DEP_2) | instskip(SKIP_2) | instid1(VALU_DEP_3)
	v_lshlrev_b64 v[2:3], 2, v[1:2]
	v_add_co_ci_u32_e32 v4, vcc_lo, s3, v4, vcc_lo
	v_ashrrev_i32_e32 v1, 31, v0
	v_add_co_u32 v22, vcc_lo, v5, v2
	s_delay_alu instid0(VALU_DEP_2) | instskip(NEXT) | instid1(VALU_DEP_4)
	v_lshlrev_b64 v[17:18], 2, v[0:1]
	v_add_co_ci_u32_e32 v23, vcc_lo, v4, v3, vcc_lo
	s_delay_alu instid0(VALU_DEP_2) | instskip(NEXT) | instid1(VALU_DEP_3)
	v_add_co_u32 v24, vcc_lo, s19, v17
	v_add_co_ci_u32_e32 v25, vcc_lo, s21, v18, vcc_lo
	global_load_b128 v[9:12], v[22:23], off
	global_load_b128 v[0:3], v[24:25], off
	global_load_b128 v[13:16], v[22:23], off offset:16
	global_load_b128 v[4:7], v[24:25], off offset:16
	global_load_b32 v22, v[22:23], off offset:32
	global_load_b32 v8, v[24:25], off offset:32
	s_waitcnt vmcnt(4)
	v_fma_f32 v20, v9, v0, 0
	s_delay_alu instid0(VALU_DEP_1) | instskip(NEXT) | instid1(VALU_DEP_1)
	v_fmac_f32_e32 v20, v10, v1
	v_fmac_f32_e32 v20, v11, v2
	s_delay_alu instid0(VALU_DEP_1) | instskip(SKIP_1) | instid1(VALU_DEP_1)
	v_fmac_f32_e32 v20, v12, v3
	s_waitcnt vmcnt(2)
	v_fmac_f32_e32 v20, v13, v4
	s_delay_alu instid0(VALU_DEP_1) | instskip(NEXT) | instid1(VALU_DEP_1)
	v_fmac_f32_e32 v20, v14, v5
	v_fmac_f32_e32 v20, v15, v6
	s_delay_alu instid0(VALU_DEP_1) | instskip(SKIP_1) | instid1(VALU_DEP_1)
	v_fmac_f32_e32 v20, v16, v7
	s_waitcnt vmcnt(0)
	v_fmac_f32_e32 v20, v22, v8
	s_delay_alu instid0(VALU_DEP_1) | instskip(NEXT) | instid1(VALU_DEP_1)
	v_add_f32_e32 v20, v21, v20
	v_mul_f32_e32 v23, 0xbfb8aa3b, v20
	v_cmp_nlt_f32_e32 vcc_lo, 0x42ce8ed0, v20
	s_delay_alu instid0(VALU_DEP_2) | instskip(SKIP_1) | instid1(VALU_DEP_1)
	v_fma_f32 v24, 0xbfb8aa3b, v20, -v23
	v_rndne_f32_e32 v25, v23
	v_dual_fmac_f32 v24, 0xb2a5705f, v20 :: v_dual_sub_f32 v23, v23, v25
	s_delay_alu instid0(VALU_DEP_1) | instskip(SKIP_1) | instid1(VALU_DEP_2)
	v_add_f32_e32 v23, v23, v24
	v_cvt_i32_f32_e32 v24, v25
	v_exp_f32_e32 v23, v23
	s_waitcnt_depctr 0xfff
	v_ldexp_f32 v23, v23, v24
	s_delay_alu instid0(VALU_DEP_1) | instskip(SKIP_1) | instid1(VALU_DEP_2)
	v_cndmask_b32_e32 v23, 0, v23, vcc_lo
	v_cmp_ngt_f32_e32 vcc_lo, 0xc2b17218, v20
	v_cndmask_b32_e32 v23, 0x7f800000, v23, vcc_lo
	s_delay_alu instid0(VALU_DEP_1) | instskip(NEXT) | instid1(VALU_DEP_1)
	v_add_f32_e32 v23, 1.0, v23
	v_div_scale_f32 v24, null, v23, v23, v20
	s_delay_alu instid0(VALU_DEP_1) | instskip(SKIP_2) | instid1(VALU_DEP_1)
	v_rcp_f32_e32 v25, v24
	s_waitcnt_depctr 0xfff
	v_fma_f32 v26, -v24, v25, 1.0
	v_fmac_f32_e32 v25, v26, v25
	v_div_scale_f32 v26, vcc_lo, v20, v23, v20
	s_delay_alu instid0(VALU_DEP_1) | instskip(NEXT) | instid1(VALU_DEP_1)
	v_mul_f32_e32 v27, v26, v25
	v_fma_f32 v28, -v24, v27, v26
	s_delay_alu instid0(VALU_DEP_1) | instskip(NEXT) | instid1(VALU_DEP_1)
	v_fmac_f32_e32 v27, v28, v25
	v_fma_f32 v24, -v24, v27, v26
	s_delay_alu instid0(VALU_DEP_1) | instskip(NEXT) | instid1(VALU_DEP_1)
	v_div_fmas_f32 v24, v24, v25, v27
	v_div_fixup_f32 v20, v24, v23, v20
	global_store_b32 v19, v20, s[22:23]
	s_cbranch_scc1 .LBB6_6
; %bb.4:
	s_ashr_i32 s2, s5, 2
	s_mov_b64 s[18:19], 4
	s_ashr_i32 s3, s2, 31
	s_add_u32 s0, s0, s7
	s_addc_u32 s1, s1, s14
	s_add_u32 s0, s0, s11
	s_addc_u32 s1, s1, s20
	v_add_co_u32 v17, vcc_lo, s0, v17
	s_add_u32 s0, s12, -1
	v_add_co_ci_u32_e32 v18, vcc_lo, s1, v18, vcc_lo
	s_addc_u32 s1, s13, -1
	s_lshl_b64 s[2:3], s[2:3], 2
	v_add_co_u32 v17, vcc_lo, v17, 36
	s_add_u32 s4, s4, s2
	s_addc_u32 s5, s15, s3
	s_add_u32 s6, s16, s6
	s_addc_u32 s7, s17, s9
	;; [unrolled: 2-line block ×3, first 2 shown]
	v_add_co_u32 v19, s4, s4, v19
	v_add_co_ci_u32_e32 v18, vcc_lo, 0, v18, vcc_lo
	v_add_co_ci_u32_e64 v20, null, s5, 0, s4
	s_mov_b64 s[4:5], 1
	s_mov_b64 s[6:7], 0
	;; [unrolled: 1-line block ×9, first 2 shown]
.LBB6_5:                                ; =>This Inner Loop Header: Depth=1
	s_add_u32 s24, 0, 0x71c4fc00
	s_addc_u32 s25, 0, 0x7c
	s_mul_hi_u32 s27, s24, -9
	s_add_i32 s25, s25, 0x1c71c6a0
	s_sub_i32 s27, s27, s24
	s_mul_i32 s30, s25, -9
	s_mul_i32 s26, s24, -9
	s_add_i32 s27, s27, s30
	s_mul_hi_u32 s28, s24, s26
	s_mul_i32 s31, s24, s27
	s_mul_hi_u32 s30, s24, s27
	s_mul_hi_u32 s29, s25, s26
	s_mul_i32 s26, s25, s26
	s_add_u32 s28, s28, s31
	s_addc_u32 s30, 0, s30
	s_mul_hi_u32 s33, s25, s27
	s_add_u32 s26, s28, s26
	s_mul_i32 s27, s25, s27
	s_addc_u32 s26, s30, s29
	s_addc_u32 s28, s33, 0
	s_add_u32 s26, s26, s27
	s_addc_u32 s27, 0, s28
	v_add_co_u32 v24, s24, s24, s26
	s_delay_alu instid0(VALU_DEP_1)
	s_cmp_lg_u32 s24, 0
	global_load_b32 v23, v[17:18], off
	s_addc_u32 s25, s25, s27
	v_readfirstlane_b32 s33, v24
	s_mul_i32 s37, s4, s25
	s_mul_hi_u32 s36, s4, s25
	s_mul_hi_u32 s49, s5, s25
	s_mul_i32 s60, s5, s25
	s_mul_hi_u32 s77, s4, s33
	s_mul_i32 s79, s5, s33
	s_add_u32 s37, s77, s37
	s_mul_hi_u32 s78, s5, s33
	s_addc_u32 s36, 0, s36
	s_add_u32 s37, s37, s79
	s_addc_u32 s36, s36, s78
	s_addc_u32 s37, s49, 0
	s_add_u32 s36, s36, s60
	s_addc_u32 s37, 0, s37
	s_mul_i32 s60, s36, 9
	s_mul_hi_u32 s49, s36, 9
	s_mul_i32 s37, s37, 9
	v_sub_co_u32 v24, s60, s4, s60
	s_add_i32 s49, s49, s37
	s_cmp_lg_u32 s60, 0
	s_mul_i32 s62, s8, s25
	s_subb_u32 s37, s5, s49
	v_sub_co_u32 v25, s49, v24, 9
	s_delay_alu instid0(VALU_DEP_1) | instskip(SKIP_2) | instid1(VALU_DEP_2)
	s_cmp_lg_u32 s49, 0
	v_readfirstlane_b32 s60, v24
	s_subb_u32 s49, s37, 0
	v_readfirstlane_b32 s77, v25
	s_mul_hi_u32 s80, s8, s33
	s_mul_hi_u32 s61, s8, s25
	s_mul_i32 s82, s9, s33
	s_mul_hi_u32 s81, s9, s33
	s_cmp_gt_u32 s77, 8
	s_mul_hi_u32 s63, s9, s25
	s_cselect_b32 s77, -1, 0
	s_cmp_eq_u32 s49, 0
	s_mul_i32 s64, s9, s25
	s_cselect_b32 s49, s77, -1
	s_add_i32 s77, s36, 1
	s_add_i32 s78, s36, 2
	s_cmp_lg_u32 s49, 0
	s_mul_i32 s66, s10, s25
	s_cselect_b32 s49, s78, s77
	s_cmp_gt_u32 s60, 8
	s_mul_hi_u32 s83, s10, s33
	s_cselect_b32 s60, -1, 0
	s_cmp_eq_u32 s37, 0
	s_mul_hi_u32 s65, s10, s25
	s_cselect_b32 s37, s60, -1
	s_mul_i32 s85, s11, s33
	s_cmp_lg_u32 s37, 0
	s_mul_hi_u32 s84, s11, s33
	s_cselect_b32 s36, s49, s36
	s_add_u32 s37, s80, s62
	s_addc_u32 s49, 0, s61
	s_add_u32 s37, s37, s82
	s_addc_u32 s37, s49, s81
	s_addc_u32 s49, s63, 0
	s_add_u32 s37, s37, s64
	s_addc_u32 s49, 0, s49
	s_mul_i32 s61, s37, 9
	s_mul_hi_u32 s60, s37, 9
	s_mul_i32 s49, s49, 9
	v_sub_co_u32 v24, s61, s8, s61
	s_add_i32 s60, s60, s49
	s_cmp_lg_u32 s61, 0
	s_mul_hi_u32 s67, s11, s25
	s_subb_u32 s49, s9, s60
	v_sub_co_u32 v25, s60, v24, 9
	s_delay_alu instid0(VALU_DEP_1) | instskip(SKIP_2) | instid1(VALU_DEP_2)
	s_cmp_lg_u32 s60, 0
	v_readfirstlane_b32 s61, v24
	s_subb_u32 s60, s49, 0
	v_readfirstlane_b32 s62, v25
	s_mul_i32 s68, s11, s25
	s_mul_i32 s70, s12, s25
	s_mul_hi_u32 s86, s12, s33
	s_mul_hi_u32 s69, s12, s25
	s_cmp_gt_u32 s62, 8
	s_mul_i32 s88, s13, s33
	s_cselect_b32 s62, -1, 0
	s_cmp_eq_u32 s60, 0
	s_mul_hi_u32 s87, s13, s33
	s_cselect_b32 s60, s62, -1
	s_add_i32 s62, s37, 1
	s_add_i32 s63, s37, 2
	s_cmp_lg_u32 s60, 0
	s_mul_hi_u32 s71, s13, s25
	s_cselect_b32 s60, s63, s62
	s_cmp_gt_u32 s61, 8
	s_mul_i32 s72, s13, s25
	s_cselect_b32 s61, -1, 0
	s_cmp_eq_u32 s49, 0
	s_mul_i32 s74, s14, s25
	s_cselect_b32 s49, s61, -1
	s_mul_hi_u32 s89, s14, s33
	s_cmp_lg_u32 s49, 0
	s_mul_hi_u32 s73, s14, s25
	s_cselect_b32 s37, s60, s37
	s_add_u32 s49, s83, s66
	s_addc_u32 s60, 0, s65
	s_add_u32 s49, s49, s85
	s_addc_u32 s49, s60, s84
	s_addc_u32 s60, s67, 0
	s_add_u32 s49, s49, s68
	s_addc_u32 s60, 0, s60
	s_mul_i32 s62, s49, 9
	s_mul_hi_u32 s61, s49, 9
	s_mul_i32 s60, s60, 9
	v_sub_co_u32 v24, s62, s10, s62
	s_add_i32 s61, s61, s60
	s_cmp_lg_u32 s62, 0
	s_mul_i32 s91, s15, s33
	s_subb_u32 s60, s11, s61
	v_sub_co_u32 v25, s61, v24, 9
	s_delay_alu instid0(VALU_DEP_1) | instskip(SKIP_2) | instid1(VALU_DEP_2)
	s_cmp_lg_u32 s61, 0
	v_readfirstlane_b32 s62, v24
	s_subb_u32 s61, s60, 0
	v_readfirstlane_b32 s63, v25
	s_mul_hi_u32 s90, s15, s33
	s_mul_hi_u32 s75, s15, s25
	s_mul_i32 s76, s15, s25
	s_mul_i32 s56, s16, s25
	s_cmp_gt_u32 s63, 8
	s_mul_hi_u32 s92, s16, s33
	s_cselect_b32 s63, -1, 0
	s_cmp_eq_u32 s61, 0
	s_mul_hi_u32 s55, s16, s25
	s_cselect_b32 s61, s63, -1
	s_add_i32 s63, s49, 1
	s_add_i32 s64, s49, 2
	s_cmp_lg_u32 s61, 0
	s_mul_i32 s94, s17, s33
	s_cselect_b32 s61, s64, s63
	s_cmp_gt_u32 s62, 8
	s_mul_hi_u32 s93, s17, s33
	s_cselect_b32 s62, -1, 0
	s_cmp_eq_u32 s60, 0
	s_mul_hi_u32 s53, s17, s25
	s_cselect_b32 s60, s62, -1
	s_mul_i32 s54, s17, s25
	s_cmp_lg_u32 s60, 0
	s_mul_i32 s50, s18, s25
	s_cselect_b32 s49, s61, s49
	s_add_u32 s60, s86, s70
	s_addc_u32 s61, 0, s69
	s_add_u32 s60, s60, s88
	s_addc_u32 s60, s61, s87
	s_addc_u32 s61, s71, 0
	s_add_u32 s60, s60, s72
	s_addc_u32 s61, 0, s61
	s_mul_i32 s63, s60, 9
	s_mul_hi_u32 s62, s60, 9
	s_mul_i32 s61, s61, 9
	v_sub_co_u32 v24, s63, s12, s63
	s_add_i32 s62, s62, s61
	s_cmp_lg_u32 s63, 0
	s_mul_hi_u32 s59, s18, s33
	s_subb_u32 s61, s13, s62
	v_sub_co_u32 v25, s62, v24, 9
	s_delay_alu instid0(VALU_DEP_1) | instskip(SKIP_2) | instid1(VALU_DEP_2)
	s_cmp_lg_u32 s62, 0
	v_readfirstlane_b32 s63, v24
	s_subb_u32 s62, s61, 0
	v_readfirstlane_b32 s64, v25
	s_mul_hi_u32 s47, s18, s25
	s_mul_i32 s58, s19, s33
	s_mul_hi_u32 s57, s19, s33
	s_mul_hi_u32 s45, s19, s25
	s_cmp_gt_u32 s64, 8
	s_mul_i32 s46, s19, s25
	s_cselect_b32 s64, -1, 0
	s_cmp_eq_u32 s62, 0
	s_mul_i32 s42, s20, s25
	s_cselect_b32 s62, s64, -1
	s_add_i32 s64, s60, 1
	s_add_i32 s65, s60, 2
	s_cmp_lg_u32 s62, 0
	s_mul_hi_u32 s52, s20, s33
	s_cselect_b32 s62, s65, s64
	s_cmp_gt_u32 s63, 8
	s_mul_hi_u32 s40, s20, s25
	s_cselect_b32 s63, -1, 0
	s_cmp_eq_u32 s61, 0
	s_mul_i32 s51, s21, s33
	s_cselect_b32 s61, s63, -1
	s_mul_hi_u32 s48, s21, s33
	s_cmp_lg_u32 s61, 0
	s_mul_hi_u32 s38, s21, s25
	s_cselect_b32 s60, s62, s60
	s_add_u32 s61, s89, s74
	s_addc_u32 s62, 0, s73
	s_add_u32 s61, s61, s91
	s_addc_u32 s61, s62, s90
	s_addc_u32 s62, s75, 0
	s_add_u32 s61, s61, s76
	s_addc_u32 s62, 0, s62
	s_mul_i32 s64, s61, 9
	s_mul_hi_u32 s63, s61, 9
	s_mul_i32 s62, s62, 9
	v_sub_co_u32 v24, s64, s14, s64
	s_add_i32 s63, s63, s62
	s_cmp_lg_u32 s64, 0
	s_mul_i32 s39, s21, s25
	s_subb_u32 s62, s15, s63
	v_sub_co_u32 v25, s63, v24, 9
	s_delay_alu instid0(VALU_DEP_1) | instskip(SKIP_2) | instid1(VALU_DEP_2)
	s_cmp_lg_u32 s63, 0
	v_readfirstlane_b32 s64, v24
	s_subb_u32 s63, s62, 0
	v_readfirstlane_b32 s65, v25
	s_mul_i32 s34, s22, s25
	s_mul_hi_u32 s44, s22, s33
	s_mul_hi_u32 s31, s22, s25
	s_mul_i32 s43, s23, s33
	s_cmp_gt_u32 s65, 8
	s_mul_hi_u32 s41, s23, s33
	s_cselect_b32 s65, -1, 0
	s_cmp_eq_u32 s63, 0
	s_mul_hi_u32 s28, s23, s25
	s_cselect_b32 s63, s65, -1
	s_add_i32 s65, s61, 1
	s_add_i32 s66, s61, 2
	s_cmp_lg_u32 s63, 0
	s_mul_i32 s29, s23, s25
	s_cselect_b32 s63, s66, s65
	s_cmp_gt_u32 s64, 8
	s_mul_i32 s27, s6, s25
	s_cselect_b32 s64, -1, 0
	s_cmp_eq_u32 s62, 0
	s_mul_hi_u32 s35, s6, s33
	s_cselect_b32 s62, s64, -1
	s_mul_hi_u32 s26, s6, s25
	s_cmp_lg_u32 s62, 0
	s_mul_hi_u32 s30, s7, s33
	s_cselect_b32 s61, s63, s61
	s_add_u32 s56, s92, s56
	s_addc_u32 s55, 0, s55
	s_add_u32 s56, s56, s94
	s_addc_u32 s55, s55, s93
	s_addc_u32 s53, s53, 0
	s_add_u32 s54, s55, s54
	s_addc_u32 s53, 0, s53
	s_mul_i32 s56, s54, 9
	s_mul_hi_u32 s55, s54, 9
	s_mul_i32 s53, s53, 9
	v_sub_co_u32 v24, s56, s16, s56
	s_add_i32 s55, s55, s53
	s_cmp_lg_u32 s56, 0
	s_mul_i32 s33, s7, s33
	s_subb_u32 s53, s17, s55
	v_sub_co_u32 v25, s55, v24, 9
	s_delay_alu instid0(VALU_DEP_1) | instskip(SKIP_2) | instid1(VALU_DEP_2)
	s_cmp_lg_u32 s55, 0
	v_readfirstlane_b32 s56, v24
	s_subb_u32 s55, s53, 0
	v_readfirstlane_b32 s62, v25
	s_mul_hi_u32 s24, s7, s25
	s_mul_i32 s25, s7, s25
	s_mul_i32 s36, s36, 9
	;; [unrolled: 1-line block ×3, first 2 shown]
	s_cmp_gt_u32 s62, 8
	s_mul_i32 s60, s60, 9
	s_cselect_b32 s62, -1, 0
	s_cmp_eq_u32 s55, 0
	s_mul_i32 s49, s49, 9
	s_cselect_b32 s55, s62, -1
	s_add_i32 s62, s54, 1
	s_add_i32 s63, s54, 2
	s_cmp_lg_u32 s55, 0
	s_mul_i32 s37, s37, 9
	s_cselect_b32 s55, s63, s62
	s_cmp_gt_u32 s56, 8
	v_add_co_u32 v17, vcc_lo, v17, 4
	s_cselect_b32 s56, -1, 0
	s_cmp_eq_u32 s53, 0
	v_add_co_ci_u32_e32 v18, vcc_lo, 0, v18, vcc_lo
	s_cselect_b32 s53, s56, -1
	s_delay_alu instid0(SALU_CYCLE_1)
	s_cmp_lg_u32 s53, 0
	s_cselect_b32 s53, s55, s54
	s_add_u32 s50, s59, s50
	s_addc_u32 s47, 0, s47
	s_add_u32 s50, s50, s58
	s_addc_u32 s47, s47, s57
	s_addc_u32 s45, s45, 0
	s_add_u32 s46, s47, s46
	s_addc_u32 s45, 0, s45
	s_mul_i32 s50, s46, 9
	s_mul_hi_u32 s47, s46, 9
	s_mul_i32 s45, s45, 9
	v_sub_co_u32 v24, s50, s18, s50
	s_add_i32 s47, s47, s45
	s_cmp_lg_u32 s50, 0
	s_mul_i32 s53, s53, 9
	s_subb_u32 s45, s19, s47
	v_sub_co_u32 v25, s47, v24, 9
	s_delay_alu instid0(VALU_DEP_1) | instskip(SKIP_2) | instid1(VALU_DEP_2)
	s_cmp_lg_u32 s47, 0
	v_readfirstlane_b32 s50, v24
	s_subb_u32 s47, s45, 0
	v_readfirstlane_b32 s54, v25
	s_delay_alu instid0(VALU_DEP_1)
	s_cmp_gt_u32 s54, 8
	s_cselect_b32 s54, -1, 0
	s_cmp_eq_u32 s47, 0
	s_cselect_b32 s47, s54, -1
	s_add_i32 s54, s46, 1
	s_add_i32 s55, s46, 2
	s_cmp_lg_u32 s47, 0
	s_cselect_b32 s47, s55, s54
	s_cmp_gt_u32 s50, 8
	s_cselect_b32 s50, -1, 0
	s_cmp_eq_u32 s45, 0
	s_cselect_b32 s45, s50, -1
	s_delay_alu instid0(SALU_CYCLE_1)
	s_cmp_lg_u32 s45, 0
	s_cselect_b32 s45, s47, s46
	s_add_u32 s42, s52, s42
	s_addc_u32 s40, 0, s40
	s_add_u32 s42, s42, s51
	s_addc_u32 s40, s40, s48
	s_addc_u32 s38, s38, 0
	s_add_u32 s39, s40, s39
	s_addc_u32 s38, 0, s38
	s_mul_i32 s42, s39, 9
	s_mul_hi_u32 s40, s39, 9
	s_mul_i32 s38, s38, 9
	v_sub_co_u32 v24, s42, s20, s42
	s_add_i32 s40, s40, s38
	s_cmp_lg_u32 s42, 0
	s_mul_i32 s45, s45, 9
	s_subb_u32 s38, s21, s40
	v_sub_co_u32 v25, s40, v24, 9
	s_delay_alu instid0(VALU_DEP_1) | instskip(SKIP_2) | instid1(VALU_DEP_2)
	s_cmp_lg_u32 s40, 0
	v_readfirstlane_b32 s42, v24
	s_subb_u32 s40, s38, 0
	v_readfirstlane_b32 s46, v25
	s_delay_alu instid0(VALU_DEP_1)
	s_cmp_gt_u32 s46, 8
	s_cselect_b32 s46, -1, 0
	s_cmp_eq_u32 s40, 0
	s_cselect_b32 s40, s46, -1
	s_add_i32 s46, s39, 1
	s_add_i32 s47, s39, 2
	s_cmp_lg_u32 s40, 0
	s_cselect_b32 s40, s47, s46
	s_cmp_gt_u32 s42, 8
	s_cselect_b32 s42, -1, 0
	s_cmp_eq_u32 s38, 0
	;; [unrolled: 37-line block ×4, first 2 shown]
	s_cselect_b32 s24, s27, -1
	s_delay_alu instid0(SALU_CYCLE_1)
	s_cmp_lg_u32 s24, 0
	s_cselect_b32 s24, s26, s25
	s_sub_i32 s25, s6, s36
	s_mul_i32 s24, s24, -9
	s_add_i32 s25, s25, 1
	s_add_i32 s24, s6, s24
	s_add_u32 s4, s4, 1
	s_mov_b32 m0, s24
	s_addc_u32 s5, s5, 0
	s_waitcnt vmcnt(0)
	v_movreld_b32_e32 v0, v23
	s_mov_b32 m0, s25
	s_sub_i32 s26, s6, s28
	v_movrels_b32_e32 v23, v0
	s_add_i32 s26, s26, 2
	s_sub_i32 s27, s6, s38
	s_mov_b32 m0, s26
	s_add_i32 s27, s27, 3
	v_movrels_b32_e32 v24, v0
	v_fma_f32 v23, v9, v23, 0
	s_mov_b32 m0, s27
	s_sub_i32 s28, s6, s45
	v_movrels_b32_e32 v25, v0
	s_add_i32 s28, s28, 4
	v_fmac_f32_e32 v23, v10, v24
	s_mov_b32 m0, s28
	s_sub_i32 s29, s6, s53
	v_movrels_b32_e32 v26, v0
	s_add_i32 s29, s29, 5
	v_fmac_f32_e32 v23, v11, v25
	;; [unrolled: 5-line block ×6, first 2 shown]
	s_mov_b32 m0, s34
	s_add_u32 s6, s6, 1
	v_movrels_b32_e32 v25, v0
	s_addc_u32 s7, s7, 0
	v_fmac_f32_e32 v23, v16, v29
	s_add_u32 s8, s8, 1
	s_addc_u32 s9, s9, 0
	s_add_u32 s10, s10, 1
	s_addc_u32 s11, s11, 0
	v_fmac_f32_e32 v23, v22, v25
	s_add_u32 s12, s12, 1
	s_addc_u32 s13, s13, 0
	s_add_u32 s14, s14, 1
	s_addc_u32 s15, s15, 0
	v_add_f32_e32 v23, v21, v23
	s_add_u32 s16, s16, 1
	s_addc_u32 s17, s17, 0
	s_add_u32 s18, s18, 1
	s_addc_u32 s19, s19, 0
	v_mul_f32_e32 v24, 0xbfb8aa3b, v23
	v_cmp_nlt_f32_e32 vcc_lo, 0x42ce8ed0, v23
	s_add_u32 s20, s20, 1
	s_addc_u32 s21, s21, 0
	s_add_u32 s22, s22, 1
	v_fma_f32 v25, 0xbfb8aa3b, v23, -v24
	v_rndne_f32_e32 v26, v24
	s_addc_u32 s23, s23, 0
	s_cmp_eq_u64 s[0:1], s[6:7]
	s_delay_alu instid0(VALU_DEP_1) | instskip(NEXT) | instid1(VALU_DEP_1)
	v_dual_fmac_f32 v25, 0xb2a5705f, v23 :: v_dual_sub_f32 v24, v24, v26
	v_add_f32_e32 v24, v24, v25
	v_cvt_i32_f32_e32 v25, v26
	s_delay_alu instid0(VALU_DEP_2) | instskip(SKIP_2) | instid1(VALU_DEP_1)
	v_exp_f32_e32 v24, v24
	s_waitcnt_depctr 0xfff
	v_ldexp_f32 v24, v24, v25
	v_cndmask_b32_e32 v24, 0, v24, vcc_lo
	v_cmp_ngt_f32_e32 vcc_lo, 0xc2b17218, v23
	s_delay_alu instid0(VALU_DEP_2) | instskip(NEXT) | instid1(VALU_DEP_1)
	v_cndmask_b32_e32 v24, 0x7f800000, v24, vcc_lo
	v_add_f32_e32 v24, 1.0, v24
	s_delay_alu instid0(VALU_DEP_1) | instskip(SKIP_1) | instid1(VALU_DEP_2)
	v_div_scale_f32 v25, null, v24, v24, v23
	v_div_scale_f32 v27, vcc_lo, v23, v24, v23
	v_rcp_f32_e32 v26, v25
	s_waitcnt_depctr 0xfff
	v_fma_f32 v28, -v25, v26, 1.0
	s_delay_alu instid0(VALU_DEP_1) | instskip(NEXT) | instid1(VALU_DEP_1)
	v_fmac_f32_e32 v26, v28, v26
	v_mul_f32_e32 v28, v27, v26
	s_delay_alu instid0(VALU_DEP_1) | instskip(NEXT) | instid1(VALU_DEP_1)
	v_fma_f32 v29, -v25, v28, v27
	v_fmac_f32_e32 v28, v29, v26
	s_delay_alu instid0(VALU_DEP_1) | instskip(NEXT) | instid1(VALU_DEP_1)
	v_fma_f32 v25, -v25, v28, v27
	v_div_fmas_f32 v25, v25, v26, v28
	s_delay_alu instid0(VALU_DEP_1)
	v_div_fixup_f32 v23, v25, v24, v23
	global_store_b32 v[19:20], v23, off
	v_add_co_u32 v19, vcc_lo, v19, s2
	v_add_co_ci_u32_e32 v20, vcc_lo, s3, v20, vcc_lo
	s_cbranch_scc0 .LBB6_5
.LBB6_6:
	s_nop 0
	s_sendmsg sendmsg(MSG_DEALLOC_VGPRS)
	s_endpgm
	.section	.rodata,"a",@progbits
	.p2align	6, 0x0
	.amdhsa_kernel _ZL12ssm_conv_f32ILb1ELm128ELm9EEvPKfS1_S1_iiiiPfiiil
		.amdhsa_group_segment_fixed_size 0
		.amdhsa_private_segment_fixed_size 0
		.amdhsa_kernarg_size 72
		.amdhsa_user_sgpr_count 14
		.amdhsa_user_sgpr_dispatch_ptr 0
		.amdhsa_user_sgpr_queue_ptr 0
		.amdhsa_user_sgpr_kernarg_segment_ptr 1
		.amdhsa_user_sgpr_dispatch_id 0
		.amdhsa_user_sgpr_private_segment_size 0
		.amdhsa_wavefront_size32 1
		.amdhsa_uses_dynamic_stack 0
		.amdhsa_enable_private_segment 0
		.amdhsa_system_sgpr_workgroup_id_x 1
		.amdhsa_system_sgpr_workgroup_id_y 1
		.amdhsa_system_sgpr_workgroup_id_z 0
		.amdhsa_system_sgpr_workgroup_info 0
		.amdhsa_system_vgpr_workitem_id 0
		.amdhsa_next_free_vgpr 30
		.amdhsa_next_free_sgpr 95
		.amdhsa_reserve_vcc 1
		.amdhsa_float_round_mode_32 0
		.amdhsa_float_round_mode_16_64 0
		.amdhsa_float_denorm_mode_32 3
		.amdhsa_float_denorm_mode_16_64 3
		.amdhsa_dx10_clamp 1
		.amdhsa_ieee_mode 1
		.amdhsa_fp16_overflow 0
		.amdhsa_workgroup_processor_mode 1
		.amdhsa_memory_ordered 1
		.amdhsa_forward_progress 0
		.amdhsa_shared_vgpr_count 0
		.amdhsa_exception_fp_ieee_invalid_op 0
		.amdhsa_exception_fp_denorm_src 0
		.amdhsa_exception_fp_ieee_div_zero 0
		.amdhsa_exception_fp_ieee_overflow 0
		.amdhsa_exception_fp_ieee_underflow 0
		.amdhsa_exception_fp_ieee_inexact 0
		.amdhsa_exception_int_div_zero 0
	.end_amdhsa_kernel
	.section	.text._ZL12ssm_conv_f32ILb1ELm128ELm9EEvPKfS1_S1_iiiiPfiiil,"axG",@progbits,_ZL12ssm_conv_f32ILb1ELm128ELm9EEvPKfS1_S1_iiiiPfiiil,comdat
.Lfunc_end6:
	.size	_ZL12ssm_conv_f32ILb1ELm128ELm9EEvPKfS1_S1_iiiiPfiiil, .Lfunc_end6-_ZL12ssm_conv_f32ILb1ELm128ELm9EEvPKfS1_S1_iiiiPfiiil
                                        ; -- End function
	.section	.AMDGPU.csdata,"",@progbits
; Kernel info:
; codeLenInByte = 3360
; NumSgprs: 97
; NumVgprs: 30
; ScratchSize: 0
; MemoryBound: 0
; FloatMode: 240
; IeeeMode: 1
; LDSByteSize: 0 bytes/workgroup (compile time only)
; SGPRBlocks: 12
; VGPRBlocks: 3
; NumSGPRsForWavesPerEU: 97
; NumVGPRsForWavesPerEU: 30
; Occupancy: 16
; WaveLimiterHint : 0
; COMPUTE_PGM_RSRC2:SCRATCH_EN: 0
; COMPUTE_PGM_RSRC2:USER_SGPR: 14
; COMPUTE_PGM_RSRC2:TRAP_HANDLER: 0
; COMPUTE_PGM_RSRC2:TGID_X_EN: 1
; COMPUTE_PGM_RSRC2:TGID_Y_EN: 1
; COMPUTE_PGM_RSRC2:TGID_Z_EN: 0
; COMPUTE_PGM_RSRC2:TIDIG_COMP_CNT: 0
	.section	.text._ZL23ssm_conv_long_token_f32ILb1ELm128ELm9ELl32EEvPKfS1_S1_iiiiPfiiil,"axG",@progbits,_ZL23ssm_conv_long_token_f32ILb1ELm128ELm9ELl32EEvPKfS1_S1_iiiiPfiiil,comdat
	.globl	_ZL23ssm_conv_long_token_f32ILb1ELm128ELm9ELl32EEvPKfS1_S1_iiiiPfiiil ; -- Begin function _ZL23ssm_conv_long_token_f32ILb1ELm128ELm9ELl32EEvPKfS1_S1_iiiiPfiiil
	.p2align	8
	.type	_ZL23ssm_conv_long_token_f32ILb1ELm128ELm9ELl32EEvPKfS1_S1_iiiiPfiiil,@function
_ZL23ssm_conv_long_token_f32ILb1ELm128ELm9ELl32EEvPKfS1_S1_iiiiPfiiil: ; @_ZL23ssm_conv_long_token_f32ILb1ELm128ELm9ELl32EEvPKfS1_S1_iiiiPfiiil
; %bb.0:
	v_mul_u32_u24_e32 v1, 0x667, v0
	s_clause 0x1
	s_load_b128 s[4:7], s[0:1], 0x18
	s_load_b64 s[2:3], s[0:1], 0x0
	s_mov_b32 s8, s15
	v_lshrrev_b32_e32 v15, 16, v1
	s_delay_alu instid0(VALU_DEP_1) | instskip(NEXT) | instid1(VALU_DEP_1)
	v_mul_lo_u16 v1, v15, 40
	v_sub_nc_u16 v3, v0, v1
	s_delay_alu instid0(VALU_DEP_1)
	v_or_b32_e32 v1, 0x80, v3
	s_waitcnt lgkmcnt(0)
	s_mul_i32 s6, s13, s6
	v_and_b32_e32 v14, 0xffff, v3
	s_ashr_i32 s9, s6, 31
	s_add_u32 s10, s2, s6
	v_mul_lo_u16 v2, 0xcd, v1
	s_addc_u32 s11, s3, s9
	s_ashr_i32 s15, s14, 31
	s_ashr_i32 s9, s8, 31
	v_alignbit_b32 v6, s15, s14, 25
	v_lshrrev_b16 v9, 13, v2
	s_ashr_i32 s6, s5, 2
	v_alignbit_b32 v7, s9, s8, 27
	s_ashr_i32 s12, s5, 31
	v_mul_lo_u32 v6, v6, s5
	v_mul_lo_u16 v2, v9, 40
	s_lshl_b64 s[2:3], s[14:15], 7
	s_lshl_b64 s[14:15], s[8:9], 5
	s_mul_i32 s8, s2, s12
	s_mul_hi_u32 s9, s2, s5
	v_sub_nc_u16 v1, v1, v2
	v_mul_lo_u32 v7, v7, s4
	s_add_i32 s9, s9, s8
	s_ashr_i32 s16, s4, 31
	v_add_nc_u32_e32 v6, s9, v6
	v_and_b32_e32 v10, 0xff, v1
	s_mul_i32 s12, s2, s5
	s_mul_i32 s16, s14, s16
	s_mul_hi_u32 s5, s14, s4
	v_add_co_u32 v12, vcc_lo, s10, s12
	v_or_b32_e32 v1, 0x80, v10
	s_add_i32 s5, s5, s16
	v_add_co_ci_u32_e32 v6, vcc_lo, s11, v6, vcc_lo
	v_add_nc_u32_e32 v7, s5, v7
	s_delay_alu instid0(VALU_DEP_3) | instskip(SKIP_1) | instid1(SALU_CYCLE_1)
	v_mul_lo_u16 v2, 0xcd, v1
	s_mul_i32 s4, s14, s4
	v_add_co_u32 v12, vcc_lo, v12, s4
	s_delay_alu instid0(VALU_DEP_2) | instskip(SKIP_2) | instid1(VALU_DEP_2)
	v_lshrrev_b16 v19, 13, v2
	v_add_co_ci_u32_e32 v13, vcc_lo, v6, v7, vcc_lo
	s_mov_b32 s4, exec_lo
	v_mul_lo_u16 v2, v19, 40
	s_delay_alu instid0(VALU_DEP_1) | instskip(NEXT) | instid1(VALU_DEP_1)
	v_sub_nc_u16 v1, v1, v2
	v_and_b32_e32 v11, 0xff, v1
	s_delay_alu instid0(VALU_DEP_1) | instskip(NEXT) | instid1(VALU_DEP_1)
	v_or_b32_e32 v1, 0x80, v11
	v_mul_lo_u16 v2, 0xcd, v1
	s_delay_alu instid0(VALU_DEP_1) | instskip(NEXT) | instid1(VALU_DEP_1)
	v_lshrrev_b16 v23, 13, v2
	v_mul_lo_u16 v2, v23, 40
	s_delay_alu instid0(VALU_DEP_1) | instskip(NEXT) | instid1(VALU_DEP_1)
	v_sub_nc_u16 v1, v1, v2
	v_and_b32_e32 v16, 0xff, v1
	s_delay_alu instid0(VALU_DEP_1) | instskip(NEXT) | instid1(VALU_DEP_1)
	v_or_b32_e32 v1, 0x80, v16
	v_mul_lo_u16 v2, 0xcd, v1
	s_delay_alu instid0(VALU_DEP_1) | instskip(NEXT) | instid1(VALU_DEP_1)
	v_lshrrev_b16 v25, 13, v2
	;; [unrolled: 9-line block ×5, first 2 shown]
	v_mul_lo_u16 v4, v30, 40
	s_delay_alu instid0(VALU_DEP_1) | instskip(NEXT) | instid1(VALU_DEP_1)
	v_sub_nc_u16 v2, v2, v4
	v_and_b32_e32 v2, 0xff, v2
	s_delay_alu instid0(VALU_DEP_1) | instskip(NEXT) | instid1(VALU_DEP_1)
	v_or_b32_e32 v3, 0x80, v2
	v_mul_lo_u16 v4, 0xcd, v3
	s_delay_alu instid0(VALU_DEP_1) | instskip(SKIP_2) | instid1(VALU_DEP_3)
	v_lshrrev_b16 v31, 13, v4
	v_mad_u64_u32 v[4:5], null, s6, v15, v[14:15]
	v_mad_u32_u24 v14, v15, 40, v14
	v_mul_lo_u16 v8, v31, 40
	v_and_b32_e32 v31, 0xffff, v31
	s_delay_alu instid0(VALU_DEP_3) | instskip(SKIP_1) | instid1(VALU_DEP_4)
	v_lshl_add_u32 v42, v14, 2, 0
	v_ashrrev_i32_e32 v5, 31, v4
	v_sub_nc_u16 v3, v3, v8
	s_delay_alu instid0(VALU_DEP_2) | instskip(NEXT) | instid1(VALU_DEP_2)
	v_lshlrev_b64 v[4:5], 2, v[4:5]
	v_and_b32_e32 v3, 0xff, v3
	s_delay_alu instid0(VALU_DEP_2) | instskip(NEXT) | instid1(VALU_DEP_3)
	v_add_co_u32 v4, vcc_lo, v12, v4
	v_add_co_ci_u32_e32 v5, vcc_lo, v13, v5, vcc_lo
	s_delay_alu instid0(VALU_DEP_3) | instskip(SKIP_2) | instid1(VALU_DEP_1)
	v_or_b32_e32 v8, 0x80, v3
	global_load_b32 v35, v[4:5], off
	v_mul_lo_u16 v20, 0xcd, v8
	v_lshrrev_b16 v32, 13, v20
	s_delay_alu instid0(VALU_DEP_1) | instskip(NEXT) | instid1(VALU_DEP_1)
	v_mul_lo_u16 v6, v32, 40
	v_sub_nc_u16 v4, v8, v6
	s_delay_alu instid0(VALU_DEP_1) | instskip(NEXT) | instid1(VALU_DEP_1)
	v_and_b32_e32 v4, 0xff, v4
	v_or_b32_e32 v5, 0x80, v4
	s_delay_alu instid0(VALU_DEP_1) | instskip(NEXT) | instid1(VALU_DEP_1)
	v_mul_lo_u16 v6, 0xcd, v5
	v_lshrrev_b16 v36, 13, v6
	s_delay_alu instid0(VALU_DEP_1) | instskip(NEXT) | instid1(VALU_DEP_1)
	v_mul_lo_u16 v6, v36, 40
	v_sub_nc_u16 v5, v5, v6
	s_delay_alu instid0(VALU_DEP_1) | instskip(NEXT) | instid1(VALU_DEP_1)
	v_and_b32_e32 v5, 0xff, v5
	v_or_b32_e32 v6, 0x80, v5
	s_delay_alu instid0(VALU_DEP_1) | instskip(NEXT) | instid1(VALU_DEP_1)
	;; [unrolled: 9-line block ×5, first 2 shown]
	v_mul_lo_u16 v21, 0xcd, v20
	v_lshrrev_b16 v40, 13, v21
	s_delay_alu instid0(VALU_DEP_1) | instskip(NEXT) | instid1(VALU_DEP_1)
	v_mul_lo_u16 v21, v40, 40
	v_sub_nc_u16 v20, v20, v21
	v_and_b32_e32 v21, 0xffff, v9
	s_delay_alu instid0(VALU_DEP_2) | instskip(NEXT) | instid1(VALU_DEP_2)
	v_and_b32_e32 v9, 0xff, v20
	v_add_nc_u32_e32 v24, v15, v21
	v_and_b32_e32 v21, 0xffff, v19
	s_delay_alu instid0(VALU_DEP_3) | instskip(NEXT) | instid1(VALU_DEP_3)
	v_or_b32_e32 v26, 0x80, v9
	v_mad_u64_u32 v[19:20], null, v24, s6, v[10:11]
	s_delay_alu instid0(VALU_DEP_3) | instskip(SKIP_1) | instid1(VALU_DEP_4)
	v_add_nc_u32_e32 v28, v24, v21
	v_mad_u32_u24 v14, v24, 40, v10
	v_mul_lo_u16 v15, 0xcd, v26
	s_delay_alu instid0(VALU_DEP_3) | instskip(NEXT) | instid1(VALU_DEP_2)
	v_mad_u64_u32 v[21:22], null, v28, s6, v[11:12]
	v_lshrrev_b16 v41, 13, v15
	v_and_b32_e32 v22, 0xffff, v23
	v_ashrrev_i32_e32 v20, 31, v19
	v_mad_u32_u24 v15, v28, 40, v11
	s_delay_alu instid0(VALU_DEP_4) | instskip(NEXT) | instid1(VALU_DEP_4)
	v_mul_lo_u16 v10, v41, 40
	v_add_nc_u32_e32 v33, v28, v22
	s_delay_alu instid0(VALU_DEP_4) | instskip(SKIP_1) | instid1(VALU_DEP_4)
	v_lshlrev_b64 v[19:20], 2, v[19:20]
	v_ashrrev_i32_e32 v22, 31, v21
	v_sub_nc_u16 v10, v26, v10
	s_delay_alu instid0(VALU_DEP_4) | instskip(SKIP_2) | instid1(VALU_DEP_4)
	v_mad_u64_u32 v[23:24], null, v33, s6, v[16:17]
	v_and_b32_e32 v24, 0xffff, v25
	v_mad_u32_u24 v61, v33, 40, v16
	v_and_b32_e32 v10, 0xff, v10
	v_add_co_u32 v19, vcc_lo, v12, v19
	s_delay_alu instid0(VALU_DEP_4) | instskip(SKIP_1) | instid1(VALU_DEP_4)
	v_add_nc_u32_e32 v11, v33, v24
	v_ashrrev_i32_e32 v24, 31, v23
	v_or_b32_e32 v34, 0x80, v10
	v_lshlrev_b64 v[21:22], 2, v[21:22]
	v_add_co_ci_u32_e32 v20, vcc_lo, v13, v20, vcc_lo
	v_mad_u64_u32 v[25:26], null, v11, s6, v[17:18]
	s_delay_alu instid0(VALU_DEP_4)
	v_mul_lo_u16 v16, 0xcd, v34
	v_and_b32_e32 v26, 0xffff, v27
	v_mad_u32_u24 v62, v11, 40, v17
	v_lshlrev_b64 v[23:24], 2, v[23:24]
	v_add_co_u32 v21, vcc_lo, v12, v21
	v_lshrrev_b16 v43, 13, v16
	v_add_nc_u32_e32 v33, v11, v26
	v_ashrrev_i32_e32 v26, 31, v25
	v_add_co_ci_u32_e32 v22, vcc_lo, v13, v22, vcc_lo
	s_delay_alu instid0(VALU_DEP_4) | instskip(NEXT) | instid1(VALU_DEP_4)
	v_mul_lo_u16 v11, v43, 40
	v_mad_u64_u32 v[27:28], null, v33, s6, v[18:19]
	v_and_b32_e32 v28, 0xffff, v29
	v_lshlrev_b64 v[16:17], 2, v[25:26]
	s_delay_alu instid0(VALU_DEP_4)
	v_sub_nc_u16 v11, v34, v11
	v_mad_u32_u24 v65, v33, 40, v18
	v_and_b32_e32 v34, 0xffff, v32
	v_add_nc_u32_e32 v63, v33, v28
	v_ashrrev_i32_e32 v28, 31, v27
	v_and_b32_e32 v11, 0xff, v11
	v_add_co_u32 v23, vcc_lo, v12, v23
	s_delay_alu instid0(VALU_DEP_4) | instskip(SKIP_1) | instid1(VALU_DEP_4)
	v_mad_u64_u32 v[25:26], null, v63, s6, v[1:2]
	v_and_b32_e32 v26, 0xffff, v30
	v_or_b32_e32 v18, 0x80, v11
	v_lshlrev_b64 v[27:28], 2, v[27:28]
	v_add_co_ci_u32_e32 v24, vcc_lo, v13, v24, vcc_lo
	s_delay_alu instid0(VALU_DEP_4) | instskip(NEXT) | instid1(VALU_DEP_4)
	v_add_nc_u32_e32 v64, v63, v26
	v_mul_lo_u16 v33, 0xcd, v18
	v_ashrrev_i32_e32 v26, 31, v25
	v_add_co_u32 v16, vcc_lo, v12, v16
	s_delay_alu instid0(VALU_DEP_4) | instskip(SKIP_4) | instid1(VALU_DEP_4)
	v_mad_u64_u32 v[29:30], null, v64, s6, v[2:3]
	v_add_nc_u32_e32 v66, v64, v31
	v_lshrrev_b16 v44, 13, v33
	v_lshlrev_b64 v[25:26], 2, v[25:26]
	v_add_co_ci_u32_e32 v17, vcc_lo, v13, v17, vcc_lo
	v_mad_u64_u32 v[31:32], null, v66, s6, v[3:4]
	s_delay_alu instid0(VALU_DEP_4) | instskip(SKIP_3) | instid1(VALU_DEP_4)
	v_mul_lo_u16 v32, v44, 40
	v_ashrrev_i32_e32 v30, 31, v29
	v_add_nc_u32_e32 v67, v66, v34
	v_add_co_u32 v27, vcc_lo, v12, v27
	v_sub_nc_u16 v18, v18, v32
	s_delay_alu instid0(VALU_DEP_4) | instskip(NEXT) | instid1(VALU_DEP_4)
	v_lshlrev_b64 v[29:30], 2, v[29:30]
	v_mad_u64_u32 v[33:34], null, v67, s6, v[4:5]
	v_and_b32_e32 v34, 0xffff, v36
	v_add_co_ci_u32_e32 v28, vcc_lo, v13, v28, vcc_lo
	v_add_co_u32 v25, vcc_lo, v12, v25
	v_and_b32_e32 v18, 0xff, v18
	v_add_co_ci_u32_e32 v26, vcc_lo, v13, v26, vcc_lo
	v_add_co_u32 v29, vcc_lo, v12, v29
	v_add_nc_u32_e32 v75, v67, v34
	v_add_co_ci_u32_e32 v30, vcc_lo, v13, v30, vcc_lo
	s_clause 0x6
	global_load_b32 v68, v[19:20], off
	global_load_b32 v69, v[21:22], off
	;; [unrolled: 1-line block ×7, first 2 shown]
	v_or_b32_e32 v25, 0x80, v18
	v_mad_u64_u32 v[19:20], null, v75, s6, v[5:6]
	v_and_b32_e32 v20, 0xffff, v37
	v_ashrrev_i32_e32 v32, 31, v31
	s_delay_alu instid0(VALU_DEP_4) | instskip(SKIP_1) | instid1(VALU_DEP_4)
	v_mul_lo_u16 v23, 0xcd, v25
	v_ashrrev_i32_e32 v34, 31, v33
	v_add_nc_u32_e32 v76, v75, v20
	s_delay_alu instid0(VALU_DEP_4) | instskip(NEXT) | instid1(VALU_DEP_4)
	v_lshlrev_b64 v[16:17], 2, v[31:32]
	v_lshrrev_b16 v37, 13, v23
	s_delay_alu instid0(VALU_DEP_4)
	v_lshlrev_b64 v[21:22], 2, v[33:34]
	v_ashrrev_i32_e32 v20, 31, v19
	v_mad_u64_u32 v[23:24], null, v76, s6, v[6:7]
	v_and_b32_e32 v24, 0xffff, v38
	v_mul_lo_u16 v26, v37, 40
	v_add_co_u32 v16, vcc_lo, v12, v16
	v_lshlrev_b64 v[19:20], 2, v[19:20]
	s_delay_alu instid0(VALU_DEP_4) | instskip(NEXT) | instid1(VALU_DEP_4)
	v_add_nc_u32_e32 v77, v76, v24
	v_sub_nc_u16 v27, v25, v26
	v_ashrrev_i32_e32 v24, 31, v23
	v_add_co_ci_u32_e32 v17, vcc_lo, v13, v17, vcc_lo
	s_delay_alu instid0(VALU_DEP_4) | instskip(NEXT) | instid1(VALU_DEP_4)
	v_mad_u64_u32 v[25:26], null, v77, s6, v[7:8]
	v_and_b32_e32 v27, 0xff, v27
	v_and_b32_e32 v26, 0xffff, v39
	v_add_co_u32 v21, vcc_lo, v12, v21
	v_lshlrev_b64 v[23:24], 2, v[23:24]
	s_delay_alu instid0(VALU_DEP_4) | instskip(NEXT) | instid1(VALU_DEP_4)
	v_or_b32_e32 v32, 0x80, v27
	v_add_nc_u32_e32 v78, v77, v26
	v_ashrrev_i32_e32 v26, 31, v25
	v_add_co_ci_u32_e32 v22, vcc_lo, v13, v22, vcc_lo
	s_delay_alu instid0(VALU_DEP_4) | instskip(NEXT) | instid1(VALU_DEP_4)
	v_mul_lo_u16 v30, 0xcd, v32
	v_mad_u64_u32 v[28:29], null, v78, s6, v[8:9]
	v_and_b32_e32 v29, 0xffff, v40
	s_waitcnt vmcnt(7)
	ds_store_b32 v42, v35
	v_lshrrev_b16 v42, 13, v30
	v_and_b32_e32 v38, 0xffff, v44
	v_add_co_u32 v19, vcc_lo, v12, v19
	v_add_nc_u32_e32 v79, v78, v29
	s_delay_alu instid0(VALU_DEP_4)
	v_mul_lo_u16 v33, v42, 40
	v_ashrrev_i32_e32 v29, 31, v28
	v_lshlrev_b64 v[25:26], 2, v[25:26]
	v_add_co_ci_u32_e32 v20, vcc_lo, v13, v20, vcc_lo
	v_mad_u64_u32 v[30:31], null, v79, s6, v[9:10]
	v_and_b32_e32 v31, 0xffff, v41
	v_sub_nc_u16 v34, v32, v33
	v_add_co_u32 v23, vcc_lo, v12, v23
	v_lshlrev_b64 v[28:29], 2, v[28:29]
	s_delay_alu instid0(VALU_DEP_4) | instskip(NEXT) | instid1(VALU_DEP_4)
	v_add_nc_u32_e32 v80, v79, v31
	v_and_b32_e32 v34, 0xff, v34
	v_and_b32_e32 v37, 0xffff, v37
	v_add_co_ci_u32_e32 v24, vcc_lo, v13, v24, vcc_lo
	s_delay_alu instid0(VALU_DEP_4) | instskip(SKIP_4) | instid1(VALU_DEP_4)
	v_mad_u64_u32 v[32:33], null, v80, s6, v[10:11]
	v_and_b32_e32 v33, 0xffff, v43
	v_or_b32_e32 v41, 0x80, v34
	v_add_co_u32 v25, vcc_lo, v12, v25
	v_add_co_ci_u32_e32 v26, vcc_lo, v13, v26, vcc_lo
	v_add_nc_u32_e32 v81, v80, v33
	s_delay_alu instid0(VALU_DEP_4) | instskip(SKIP_2) | instid1(VALU_DEP_4)
	v_mul_lo_u16 v39, 0xcd, v41
	v_add_co_u32 v28, vcc_lo, v12, v28
	v_ashrrev_i32_e32 v31, 31, v30
	v_add_nc_u32_e32 v82, v81, v38
	s_delay_alu instid0(VALU_DEP_4) | instskip(SKIP_2) | instid1(VALU_DEP_4)
	v_lshrrev_b16 v44, 13, v39
	v_mad_u64_u32 v[35:36], null, v81, s6, v[11:12]
	v_ashrrev_i32_e32 v33, 31, v32
	v_add_nc_u32_e32 v83, v82, v37
	s_delay_alu instid0(VALU_DEP_4) | instskip(SKIP_2) | instid1(VALU_DEP_4)
	v_mul_lo_u16 v43, v44, 40
	v_mad_u64_u32 v[37:38], null, v82, s6, v[18:19]
	v_and_b32_e32 v38, 0xffff, v42
	v_mad_u64_u32 v[39:40], null, v83, s6, v[27:28]
	s_delay_alu instid0(VALU_DEP_4) | instskip(SKIP_1) | instid1(VALU_DEP_4)
	v_sub_nc_u16 v40, v41, v43
	v_ashrrev_i32_e32 v36, 31, v35
	v_add_nc_u32_e32 v84, v83, v38
	v_lshlrev_b64 v[30:31], 2, v[30:31]
	v_lshlrev_b64 v[32:33], 2, v[32:33]
	v_and_b32_e32 v41, 0xff, v40
	v_lshlrev_b64 v[35:36], 2, v[35:36]
	v_ashrrev_i32_e32 v38, 31, v37
	v_add_co_ci_u32_e32 v29, vcc_lo, v13, v29, vcc_lo
	s_delay_alu instid0(VALU_DEP_4) | instskip(SKIP_2) | instid1(VALU_DEP_3)
	v_or_b32_e32 v46, 0x80, v41
	v_add_co_u32 v30, vcc_lo, v12, v30
	v_mad_u64_u32 v[42:43], null, v84, s6, v[34:35]
	v_mul_lo_u16 v47, 0xcd, v46
	v_and_b32_e32 v43, 0xffff, v44
	v_ashrrev_i32_e32 v40, 31, v39
	v_add_co_ci_u32_e32 v31, vcc_lo, v13, v31, vcc_lo
	s_delay_alu instid0(VALU_DEP_4) | instskip(NEXT) | instid1(VALU_DEP_4)
	v_lshrrev_b16 v47, 13, v47
	v_add_nc_u32_e32 v85, v84, v43
	v_add_co_u32 v32, vcc_lo, v12, v32
	v_lshlrev_b64 v[37:38], 2, v[37:38]
	s_delay_alu instid0(VALU_DEP_4) | instskip(SKIP_3) | instid1(VALU_DEP_4)
	v_mul_lo_u16 v48, v47, 40
	v_and_b32_e32 v47, 0xffff, v47
	v_mad_u64_u32 v[44:45], null, v85, s6, v[41:42]
	v_ashrrev_i32_e32 v43, 31, v42
	v_sub_nc_u16 v46, v46, v48
	s_delay_alu instid0(VALU_DEP_4) | instskip(SKIP_2) | instid1(VALU_DEP_4)
	v_add_nc_u32_e32 v86, v85, v47
	v_add_co_ci_u32_e32 v33, vcc_lo, v13, v33, vcc_lo
	v_add_co_u32 v35, vcc_lo, v12, v35
	v_and_b32_e32 v46, 0xff, v46
	v_lshlrev_b64 v[39:40], 2, v[39:40]
	v_ashrrev_i32_e32 v45, 31, v44
	v_add_co_ci_u32_e32 v36, vcc_lo, v13, v36, vcc_lo
	s_delay_alu instid0(VALU_DEP_4) | instskip(SKIP_2) | instid1(VALU_DEP_3)
	v_or_b32_e32 v49, 0x80, v46
	v_mad_u64_u32 v[47:48], null, v86, s6, v[46:47]
	v_add_co_u32 v37, vcc_lo, v12, v37
	v_mul_lo_u16 v50, 0xcd, v49
	v_lshlrev_b64 v[42:43], 2, v[42:43]
	v_add_co_ci_u32_e32 v38, vcc_lo, v13, v38, vcc_lo
	v_ashrrev_i32_e32 v48, 31, v47
	s_delay_alu instid0(VALU_DEP_4) | instskip(SKIP_3) | instid1(VALU_DEP_4)
	v_lshrrev_b16 v50, 13, v50
	v_add_co_u32 v39, vcc_lo, v12, v39
	v_lshlrev_b64 v[44:45], 2, v[44:45]
	v_add_co_ci_u32_e32 v40, vcc_lo, v13, v40, vcc_lo
	v_mul_lo_u16 v51, v50, 40
	v_and_b32_e32 v50, 0xffff, v50
	v_add_co_u32 v42, vcc_lo, v12, v42
	v_lshlrev_b64 v[47:48], 2, v[47:48]
	s_delay_alu instid0(VALU_DEP_4) | instskip(NEXT) | instid1(VALU_DEP_4)
	v_sub_nc_u16 v49, v49, v51
	v_add_nc_u32_e32 v87, v86, v50
	v_add_co_ci_u32_e32 v43, vcc_lo, v13, v43, vcc_lo
	v_add_co_u32 v44, vcc_lo, v12, v44
	s_delay_alu instid0(VALU_DEP_4) | instskip(SKIP_2) | instid1(VALU_DEP_3)
	v_and_b32_e32 v49, 0xff, v49
	v_add_co_ci_u32_e32 v45, vcc_lo, v13, v45, vcc_lo
	v_add_co_u32 v47, vcc_lo, v12, v47
	v_or_b32_e32 v52, 0x80, v49
	v_mad_u64_u32 v[50:51], null, v87, s6, v[49:50]
	v_add_co_ci_u32_e32 v48, vcc_lo, v13, v48, vcc_lo
	s_delay_alu instid0(VALU_DEP_3) | instskip(NEXT) | instid1(VALU_DEP_3)
	v_mul_lo_u16 v53, 0xcd, v52
	v_ashrrev_i32_e32 v51, 31, v50
	s_delay_alu instid0(VALU_DEP_2) | instskip(NEXT) | instid1(VALU_DEP_2)
	v_lshrrev_b16 v53, 13, v53
	v_lshlrev_b64 v[50:51], 2, v[50:51]
	s_delay_alu instid0(VALU_DEP_2) | instskip(SKIP_1) | instid1(VALU_DEP_2)
	v_mul_lo_u16 v54, v53, 40
	v_and_b32_e32 v53, 0xffff, v53
	v_sub_nc_u16 v52, v52, v54
	s_delay_alu instid0(VALU_DEP_2) | instskip(SKIP_2) | instid1(VALU_DEP_4)
	v_add_nc_u32_e32 v88, v87, v53
	v_add_co_u32 v50, vcc_lo, v12, v50
	v_add_co_ci_u32_e32 v51, vcc_lo, v13, v51, vcc_lo
	v_and_b32_e32 v52, 0xff, v52
	s_delay_alu instid0(VALU_DEP_1) | instskip(SKIP_1) | instid1(VALU_DEP_2)
	v_or_b32_e32 v55, 0x80, v52
	v_mad_u64_u32 v[53:54], null, v88, s6, v[52:53]
	v_mul_lo_u16 v56, 0xcd, v55
	s_delay_alu instid0(VALU_DEP_2) | instskip(NEXT) | instid1(VALU_DEP_2)
	v_ashrrev_i32_e32 v54, 31, v53
	v_lshrrev_b16 v56, 13, v56
	s_delay_alu instid0(VALU_DEP_2) | instskip(NEXT) | instid1(VALU_DEP_2)
	v_lshlrev_b64 v[53:54], 2, v[53:54]
	v_mul_lo_u16 v57, v56, 40
	v_and_b32_e32 v56, 0xffff, v56
	s_delay_alu instid0(VALU_DEP_2) | instskip(NEXT) | instid1(VALU_DEP_2)
	v_sub_nc_u16 v55, v55, v57
	v_add_nc_u32_e32 v89, v88, v56
	v_add_co_u32 v53, vcc_lo, v12, v53
	v_add_co_ci_u32_e32 v54, vcc_lo, v13, v54, vcc_lo
	s_delay_alu instid0(VALU_DEP_4) | instskip(NEXT) | instid1(VALU_DEP_1)
	v_and_b32_e32 v55, 0xff, v55
	v_or_b32_e32 v58, 0x80, v55
	v_mad_u64_u32 v[56:57], null, v89, s6, v[55:56]
	s_delay_alu instid0(VALU_DEP_2) | instskip(NEXT) | instid1(VALU_DEP_2)
	v_mul_lo_u16 v59, 0xcd, v58
	v_ashrrev_i32_e32 v57, 31, v56
	s_delay_alu instid0(VALU_DEP_2) | instskip(NEXT) | instid1(VALU_DEP_2)
	v_lshrrev_b16 v59, 13, v59
	v_lshlrev_b64 v[56:57], 2, v[56:57]
	s_delay_alu instid0(VALU_DEP_2) | instskip(SKIP_1) | instid1(VALU_DEP_2)
	v_mul_lo_u16 v60, v59, 40
	v_and_b32_e32 v59, 0xffff, v59
	v_sub_nc_u16 v58, v58, v60
	s_delay_alu instid0(VALU_DEP_2) | instskip(SKIP_2) | instid1(VALU_DEP_4)
	v_add_nc_u32_e32 v90, v89, v59
	v_add_co_u32 v56, vcc_lo, v12, v56
	v_add_co_ci_u32_e32 v57, vcc_lo, v13, v57, vcc_lo
	v_and_b32_e32 v58, 0xff, v58
	s_delay_alu instid0(VALU_DEP_1) | instskip(NEXT) | instid1(VALU_DEP_1)
	v_mad_u64_u32 v[59:60], null, v90, s6, v[58:59]
	v_ashrrev_i32_e32 v60, 31, v59
	s_delay_alu instid0(VALU_DEP_1) | instskip(NEXT) | instid1(VALU_DEP_1)
	v_lshlrev_b64 v[59:60], 2, v[59:60]
	v_add_co_u32 v59, vcc_lo, v12, v59
	s_delay_alu instid0(VALU_DEP_2)
	v_add_co_ci_u32_e32 v60, vcc_lo, v13, v60, vcc_lo
	s_clause 0x11
	global_load_b32 v91, v[16:17], off
	global_load_b32 v21, v[21:22], off
	;; [unrolled: 1-line block ×18, first 2 shown]
	v_mad_u64_u32 v[16:17], null, v63, 40, v[1:2]
	v_lshl_add_u32 v1, v14, 2, 0
	v_lshl_add_u32 v17, v15, 2, 0
	;; [unrolled: 1-line block ×4, first 2 shown]
	v_mad_u64_u32 v[14:15], null, v64, 40, v[2:3]
	v_lshl_add_u32 v15, v65, 2, 0
	v_lshl_add_u32 v16, v16, 2, 0
	s_waitcnt vmcnt(24)
	ds_store_b32 v1, v68
	s_waitcnt vmcnt(23)
	ds_store_b32 v17, v69
	;; [unrolled: 2-line block ×4, first 2 shown]
	v_mad_u64_u32 v[1:2], null, v66, 40, v[3:4]
	v_mad_u64_u32 v[2:3], null, v67, 40, v[4:5]
	;; [unrolled: 1-line block ×4, first 2 shown]
	v_lshl_add_u32 v14, v14, 2, 0
	v_mad_u64_u32 v[5:6], null, v77, 40, v[7:8]
	v_lshl_add_u32 v6, v1, 2, 0
	v_lshl_add_u32 v7, v2, 2, 0
	v_mad_u64_u32 v[1:2], null, v78, 40, v[8:9]
	s_waitcnt vmcnt(20)
	ds_store_b32 v15, v72
	s_waitcnt vmcnt(19)
	ds_store_b32 v16, v73
	;; [unrolled: 2-line block ×3, first 2 shown]
	v_lshl_add_u32 v14, v3, 2, 0
	v_mad_u64_u32 v[2:3], null, v79, 40, v[9:10]
	v_lshl_add_u32 v15, v4, 2, 0
	v_mad_u64_u32 v[3:4], null, v80, 40, v[10:11]
	v_lshl_add_u32 v5, v5, 2, 0
	v_or_b32_e32 v8, 0x80, v58
	s_waitcnt vmcnt(17)
	ds_store_b32 v6, v91
	s_waitcnt vmcnt(16)
	ds_store_b32 v7, v21
	;; [unrolled: 2-line block ×5, first 2 shown]
	v_lshl_add_u32 v5, v1, 2, 0
	v_lshl_add_u32 v6, v2, 2, 0
	v_mad_u64_u32 v[1:2], null, v81, 40, v[11:12]
	v_lshl_add_u32 v7, v3, 2, 0
	v_mad_u64_u32 v[2:3], null, v82, 40, v[18:19]
	s_waitcnt vmcnt(8)
	v_mad_u64_u32 v[3:4], null, v83, 40, v[27:28]
	ds_store_b32 v5, v23
	ds_store_b32 v6, v24
	;; [unrolled: 1-line block ×3, first 2 shown]
	s_waitcnt vmcnt(2)
	v_mad_u64_u32 v[4:5], null, v84, 40, v[34:35]
	v_lshl_add_u32 v5, v1, 2, 0
	v_lshl_add_u32 v6, v2, 2, 0
	v_mad_u64_u32 v[1:2], null, v85, 40, v[41:42]
	v_lshl_add_u32 v7, v3, 2, 0
	v_mad_u64_u32 v[2:3], null, v86, 40, v[46:47]
	v_lshl_add_u32 v3, v4, 2, 0
	ds_store_b32 v5, v26
	ds_store_b32 v6, v28
	v_mul_lo_u16 v5, 0xcd, v8
	ds_store_b32 v7, v29
	ds_store_b32 v3, v30
	v_lshl_add_u32 v7, v1, 2, 0
	v_lshl_add_u32 v9, v2, 2, 0
	v_mad_u64_u32 v[1:2], null, v87, 40, v[49:50]
	v_lshrrev_b16 v2, 13, v5
	v_mad_u64_u32 v[3:4], null, v88, 40, v[52:53]
	v_mad_u64_u32 v[4:5], null, v89, 40, v[55:56]
	v_mad_u64_u32 v[5:6], null, v90, 40, v[58:59]
	s_delay_alu instid0(VALU_DEP_4)
	v_mul_lo_u16 v6, v2, 40
	v_and_b32_e32 v2, 0xffff, v2
	ds_store_b32 v7, v31
	ds_store_b32 v9, v32
	v_lshl_add_u32 v7, v1, 2, 0
	v_lshl_add_u32 v3, v3, 2, 0
	v_sub_nc_u16 v1, v8, v6
	v_add_nc_u32_e32 v2, v90, v2
	v_lshl_add_u32 v4, v4, 2, 0
	v_lshl_add_u32 v5, v5, 2, 0
	ds_store_b32 v7, v33
	ds_store_b32 v3, v35
	s_waitcnt vmcnt(1)
	ds_store_b32 v4, v36
	s_waitcnt vmcnt(0)
	ds_store_b32 v5, v37
	v_and_b32_e32 v1, 0xff, v1
	v_cmpx_gt_u32_e32 0x80, v2
	s_cbranch_execz .LBB7_2
; %bb.1:
	s_delay_alu instid0(VALU_DEP_2) | instskip(NEXT) | instid1(VALU_DEP_1)
	v_mad_u64_u32 v[3:4], null, v2, s6, v[1:2]
	v_ashrrev_i32_e32 v4, 31, v3
	s_delay_alu instid0(VALU_DEP_1) | instskip(NEXT) | instid1(VALU_DEP_1)
	v_lshlrev_b64 v[3:4], 2, v[3:4]
	v_add_co_u32 v3, vcc_lo, v12, v3
	s_delay_alu instid0(VALU_DEP_2) | instskip(SKIP_2) | instid1(VALU_DEP_1)
	v_add_co_ci_u32_e32 v4, vcc_lo, v13, v4, vcc_lo
	global_load_b32 v5, v[3:4], off
	v_mad_u64_u32 v[3:4], null, v2, 40, v[1:2]
	v_lshl_add_u32 v3, v3, 2, 0
	s_waitcnt vmcnt(0)
	ds_store_b32 v3, v5
.LBB7_2:
	s_or_b32 exec_lo, exec_lo, s4
	s_delay_alu instid0(VALU_DEP_2) | instskip(SKIP_1) | instid1(VALU_DEP_1)
	v_or_b32_e32 v1, 0x80, v1
	s_mov_b32 s4, exec_lo
	v_mul_lo_u16 v3, 0xcd, v1
	s_delay_alu instid0(VALU_DEP_1) | instskip(NEXT) | instid1(VALU_DEP_1)
	v_lshrrev_b16 v3, 13, v3
	v_mul_lo_u16 v4, v3, 40
	v_and_b32_e32 v3, 0xffff, v3
	s_delay_alu instid0(VALU_DEP_2) | instskip(NEXT) | instid1(VALU_DEP_2)
	v_sub_nc_u16 v1, v1, v4
	v_add_nc_u32_e32 v2, v2, v3
	s_delay_alu instid0(VALU_DEP_2) | instskip(NEXT) | instid1(VALU_DEP_2)
	v_and_b32_e32 v1, 0xff, v1
	v_cmpx_gt_u32_e32 0x80, v2
	s_cbranch_execz .LBB7_4
; %bb.3:
	s_delay_alu instid0(VALU_DEP_2) | instskip(NEXT) | instid1(VALU_DEP_1)
	v_mad_u64_u32 v[3:4], null, v2, s6, v[1:2]
	v_ashrrev_i32_e32 v4, 31, v3
	s_delay_alu instid0(VALU_DEP_1) | instskip(NEXT) | instid1(VALU_DEP_1)
	v_lshlrev_b64 v[3:4], 2, v[3:4]
	v_add_co_u32 v3, vcc_lo, v12, v3
	s_delay_alu instid0(VALU_DEP_2) | instskip(SKIP_2) | instid1(VALU_DEP_1)
	v_add_co_ci_u32_e32 v4, vcc_lo, v13, v4, vcc_lo
	global_load_b32 v5, v[3:4], off
	v_mad_u64_u32 v[3:4], null, v2, 40, v[1:2]
	v_lshl_add_u32 v3, v3, 2, 0
	s_waitcnt vmcnt(0)
	ds_store_b32 v3, v5
.LBB7_4:
	s_or_b32 exec_lo, exec_lo, s4
	s_delay_alu instid0(VALU_DEP_2) | instskip(SKIP_1) | instid1(VALU_DEP_1)
	v_or_b32_e32 v1, 0x80, v1
	s_mov_b32 s4, exec_lo
	v_mul_lo_u16 v3, 0xcd, v1
	s_delay_alu instid0(VALU_DEP_1) | instskip(NEXT) | instid1(VALU_DEP_1)
	v_lshrrev_b16 v3, 13, v3
	v_mul_lo_u16 v4, v3, 40
	v_and_b32_e32 v3, 0xffff, v3
	s_delay_alu instid0(VALU_DEP_2) | instskip(NEXT) | instid1(VALU_DEP_2)
	v_sub_nc_u16 v1, v1, v4
	v_add_nc_u32_e32 v2, v2, v3
	s_delay_alu instid0(VALU_DEP_2) | instskip(NEXT) | instid1(VALU_DEP_2)
	;; [unrolled: 31-line block ×6, first 2 shown]
	v_and_b32_e32 v1, 0xff, v1
	v_cmpx_gt_u32_e32 0x80, v2
	s_cbranch_execz .LBB7_14
; %bb.13:
	s_delay_alu instid0(VALU_DEP_2) | instskip(NEXT) | instid1(VALU_DEP_1)
	v_mad_u64_u32 v[3:4], null, v2, s6, v[1:2]
	v_ashrrev_i32_e32 v4, 31, v3
	s_delay_alu instid0(VALU_DEP_1) | instskip(NEXT) | instid1(VALU_DEP_1)
	v_lshlrev_b64 v[3:4], 2, v[3:4]
	v_add_co_u32 v3, vcc_lo, v12, v3
	s_delay_alu instid0(VALU_DEP_2) | instskip(SKIP_2) | instid1(VALU_DEP_1)
	v_add_co_ci_u32_e32 v4, vcc_lo, v13, v4, vcc_lo
	global_load_b32 v5, v[3:4], off
	v_mad_u64_u32 v[3:4], null, v2, 40, v[1:2]
	v_lshl_add_u32 v3, v3, 2, 0
	s_waitcnt vmcnt(0)
	ds_store_b32 v3, v5
.LBB7_14:
	s_or_b32 exec_lo, exec_lo, s4
	s_clause 0x1
	s_load_b128 s[8:11], s[0:1], 0x8
	s_load_b64 s[4:5], s[0:1], 0x28
	s_mov_b32 s12, exec_lo
	v_cmpx_gt_u32_e32 0x380, v0
	s_cbranch_execz .LBB7_35
; %bb.15:
	v_or_b32_e32 v1, 0x80, v1
	s_mov_b32 s16, exec_lo
	s_delay_alu instid0(VALU_DEP_1) | instskip(NEXT) | instid1(VALU_DEP_1)
	v_mul_lo_u16 v3, 0xcd, v1
	v_lshrrev_b16 v3, 13, v3
	s_delay_alu instid0(VALU_DEP_1) | instskip(SKIP_1) | instid1(VALU_DEP_2)
	v_mul_lo_u16 v4, v3, 40
	v_and_b32_e32 v3, 0xffff, v3
	v_sub_nc_u16 v1, v1, v4
	s_delay_alu instid0(VALU_DEP_2) | instskip(NEXT) | instid1(VALU_DEP_2)
	v_add_nc_u32_e32 v2, v2, v3
	v_and_b32_e32 v1, 0xff, v1
	s_delay_alu instid0(VALU_DEP_2)
	v_cmpx_gt_u32_e32 0x80, v2
	s_cbranch_execz .LBB7_17
; %bb.16:
	s_delay_alu instid0(VALU_DEP_2) | instskip(NEXT) | instid1(VALU_DEP_1)
	v_mad_u64_u32 v[3:4], null, v2, s6, v[1:2]
	v_ashrrev_i32_e32 v4, 31, v3
	s_delay_alu instid0(VALU_DEP_1) | instskip(NEXT) | instid1(VALU_DEP_1)
	v_lshlrev_b64 v[3:4], 2, v[3:4]
	v_add_co_u32 v3, vcc_lo, v12, v3
	s_delay_alu instid0(VALU_DEP_2) | instskip(SKIP_2) | instid1(VALU_DEP_1)
	v_add_co_ci_u32_e32 v4, vcc_lo, v13, v4, vcc_lo
	global_load_b32 v5, v[3:4], off
	v_mad_u64_u32 v[3:4], null, v2, 40, v[1:2]
	v_lshl_add_u32 v3, v3, 2, 0
	s_waitcnt vmcnt(0)
	ds_store_b32 v3, v5
.LBB7_17:
	s_or_b32 exec_lo, exec_lo, s16
	v_cmp_gt_u32_e32 vcc_lo, 0x300, v0
	s_and_b32 exec_lo, exec_lo, vcc_lo
	s_cbranch_execz .LBB7_35
; %bb.18:
	v_or_b32_e32 v1, 0x80, v1
	s_mov_b32 s16, exec_lo
	s_delay_alu instid0(VALU_DEP_1) | instskip(NEXT) | instid1(VALU_DEP_1)
	v_mul_lo_u16 v3, 0xcd, v1
	v_lshrrev_b16 v3, 13, v3
	s_delay_alu instid0(VALU_DEP_1) | instskip(SKIP_1) | instid1(VALU_DEP_2)
	v_mul_lo_u16 v4, v3, 40
	v_and_b32_e32 v3, 0xffff, v3
	v_sub_nc_u16 v1, v1, v4
	s_delay_alu instid0(VALU_DEP_2) | instskip(NEXT) | instid1(VALU_DEP_2)
	v_add_nc_u32_e32 v2, v2, v3
	v_and_b32_e32 v1, 0xff, v1
	s_delay_alu instid0(VALU_DEP_2)
	v_cmpx_gt_u32_e32 0x80, v2
	s_cbranch_execz .LBB7_20
; %bb.19:
	s_delay_alu instid0(VALU_DEP_2) | instskip(NEXT) | instid1(VALU_DEP_1)
	v_mad_u64_u32 v[3:4], null, v2, s6, v[1:2]
	v_ashrrev_i32_e32 v4, 31, v3
	s_delay_alu instid0(VALU_DEP_1) | instskip(NEXT) | instid1(VALU_DEP_1)
	v_lshlrev_b64 v[3:4], 2, v[3:4]
	v_add_co_u32 v3, vcc_lo, v12, v3
	s_delay_alu instid0(VALU_DEP_2) | instskip(SKIP_2) | instid1(VALU_DEP_1)
	v_add_co_ci_u32_e32 v4, vcc_lo, v13, v4, vcc_lo
	global_load_b32 v5, v[3:4], off
	v_mad_u64_u32 v[3:4], null, v2, 40, v[1:2]
	v_lshl_add_u32 v3, v3, 2, 0
	s_waitcnt vmcnt(0)
	ds_store_b32 v3, v5
.LBB7_20:
	s_or_b32 exec_lo, exec_lo, s16
	v_cmp_gt_u32_e32 vcc_lo, 0x280, v0
	s_and_b32 exec_lo, exec_lo, vcc_lo
	;; [unrolled: 35-line block ×6, first 2 shown]
	s_cbranch_execz .LBB7_35
; %bb.33:
	v_or_b32_e32 v3, 0x80, v1
	s_delay_alu instid0(VALU_DEP_1) | instskip(NEXT) | instid1(VALU_DEP_1)
	v_mul_lo_u16 v1, 0xcd, v3
	v_lshrrev_b16 v4, 13, v1
	s_delay_alu instid0(VALU_DEP_1) | instskip(NEXT) | instid1(VALU_DEP_1)
	v_and_b32_e32 v1, 0xffff, v4
	v_add_nc_u32_e32 v1, v2, v1
	s_delay_alu instid0(VALU_DEP_1)
	v_cmp_gt_u32_e32 vcc_lo, 0x80, v1
	s_and_b32 exec_lo, exec_lo, vcc_lo
	s_cbranch_execz .LBB7_35
; %bb.34:
	v_mul_lo_u16 v2, v4, 40
	s_delay_alu instid0(VALU_DEP_1) | instskip(NEXT) | instid1(VALU_DEP_1)
	v_sub_nc_u16 v2, v3, v2
	v_and_b32_e32 v2, 0xff, v2
	s_delay_alu instid0(VALU_DEP_1) | instskip(NEXT) | instid1(VALU_DEP_1)
	v_mad_u64_u32 v[3:4], null, v1, s6, v[2:3]
	v_ashrrev_i32_e32 v4, 31, v3
	s_delay_alu instid0(VALU_DEP_1) | instskip(NEXT) | instid1(VALU_DEP_1)
	v_lshlrev_b64 v[3:4], 2, v[3:4]
	v_add_co_u32 v3, vcc_lo, v12, v3
	s_delay_alu instid0(VALU_DEP_2) | instskip(SKIP_2) | instid1(VALU_DEP_1)
	v_add_co_ci_u32_e32 v4, vcc_lo, v13, v4, vcc_lo
	global_load_b32 v5, v[3:4], off
	v_mad_u64_u32 v[3:4], null, v1, 40, v[2:3]
	v_lshl_add_u32 v1, v3, 2, 0
	s_waitcnt vmcnt(0)
	ds_store_b32 v1, v5
.LBB7_35:
	s_or_b32 exec_lo, exec_lo, s12
	s_ashr_i32 s6, s7, 31
	s_mul_hi_u32 s12, s2, s7
	s_mul_i32 s6, s2, s6
	s_mul_i32 s16, s3, s7
	s_add_i32 s6, s12, s6
	s_mul_i32 s12, s2, s7
	s_add_i32 s6, s6, s16
	s_waitcnt lgkmcnt(0)
	s_add_u32 s8, s8, s12
	s_addc_u32 s6, s9, s6
	s_ashr_i32 s7, s7, 2
	s_delay_alu instid0(SALU_CYCLE_1)
	v_mul_lo_u32 v1, s7, v0
	s_barrier
	buffer_gl0_inv
	v_lshlrev_b32_e32 v13, 2, v0
	s_cmp_eq_u64 s[10:11], 0
	v_ashrrev_i32_e32 v2, 31, v1
	s_delay_alu instid0(VALU_DEP_1) | instskip(NEXT) | instid1(VALU_DEP_1)
	v_lshlrev_b64 v[1:2], 2, v[1:2]
	v_add_co_u32 v5, vcc_lo, s8, v1
	s_delay_alu instid0(VALU_DEP_2)
	v_add_co_ci_u32_e32 v6, vcc_lo, s6, v2, vcc_lo
	s_clause 0x2
	global_load_b32 v14, v[5:6], off offset:32
	global_load_b128 v[1:4], v[5:6], off offset:16
	global_load_b128 v[5:8], v[5:6], off
	s_cbranch_scc1 .LBB7_37
; %bb.36:
	s_lshl_b64 s[6:7], s[2:3], 2
	s_delay_alu instid0(SALU_CYCLE_1)
	s_add_u32 s6, s10, s6
	s_addc_u32 s7, s11, s7
	global_load_b32 v15, v13, s[6:7]
	s_branch .LBB7_38
.LBB7_37:
	v_mov_b32_e32 v15, 0
.LBB7_38:
	s_load_b64 s[6:7], s[0:1], 0x40
	s_waitcnt lgkmcnt(0)
	s_sub_u32 s8, s6, s14
	s_subb_u32 s9, s7, s15
	s_delay_alu instid0(SALU_CYCLE_1) | instskip(NEXT) | instid1(VALU_DEP_1)
	v_cmp_lt_i64_e64 s6, s[8:9], 1
	s_and_b32 vcc_lo, exec_lo, s6
	s_cbranch_vccnz .LBB7_45
; %bb.39:
	s_load_b128 s[20:23], s[0:1], 0x30
	v_cmp_lt_i64_e64 s0, s[8:9], 32
	v_mul_u32_u24_e32 v0, 40, v0
	s_waitcnt lgkmcnt(0)
	s_ashr_i32 s1, s21, 31
	s_ashr_i32 s11, s20, 31
	s_mul_hi_u32 s7, s14, s21
	s_mul_hi_u32 s12, s2, s20
	s_mul_i32 s1, s14, s1
	s_mul_i32 s11, s2, s11
	;; [unrolled: 1-line block ×5, first 2 shown]
	s_add_i32 s18, s7, s1
	s_add_i32 s17, s12, s11
	s_ashr_i32 s6, s21, 2
	s_ashr_i32 s15, s16, 31
	s_add_i32 s18, s18, s10
	s_add_i32 s17, s17, s3
	s_and_b32 s0, s0, exec_lo
	s_cselect_b32 s1, s9, 0
	s_cselect_b32 s0, s8, 32
	s_ashr_i32 s7, s6, 31
	v_cmp_gt_i64_e64 s1, s[0:1], 1
	s_mov_b32 s3, 0
	s_mul_i32 s19, s14, s21
	s_mul_i32 s14, s2, s20
	s_delay_alu instid0(VALU_DEP_1)
	s_and_b32 s1, s1, exec_lo
	s_cselect_b32 s20, s0, 1
	s_cmp_eq_u64 s[8:9], 1
	s_mov_b64 s[0:1], 0
	s_cbranch_scc1 .LBB7_43
; %bb.40:
	v_lshl_add_u32 v16, v0, 2, 0
	s_and_b32 s2, s20, 62
	s_lshl_b64 s[8:9], s[6:7], 2
	s_add_u32 s0, s14, s19
	s_addc_u32 s1, s17, s18
	ds_load_b32 v10, v16
	s_add_u32 s10, s4, s16
	s_addc_u32 s11, s5, s15
	s_add_u32 s0, s10, s0
	s_addc_u32 s1, s11, s1
	v_add_co_u32 v11, s0, s0, v13
	s_delay_alu instid0(VALU_DEP_1)
	v_add_co_ci_u32_e64 v12, null, s1, 0, s0
	s_lshl_b64 s[10:11], s[6:7], 3
	s_mov_b64 s[12:13], 0
.LBB7_41:                               ; =>This Inner Loop Header: Depth=1
	s_waitcnt vmcnt(0) lgkmcnt(0)
	v_fma_f32 v25, v5, v10, 0
	ds_load_2addr_b32 v[9:10], v16 offset0:1 offset1:2
	ds_load_2addr_b32 v[17:18], v16 offset0:3 offset1:4
	;; [unrolled: 1-line block ×4, first 2 shown]
	ds_load_b32 v27, v16 offset:36
	v_add_nc_u32_e32 v26, 8, v16
	v_add_co_u32 v23, vcc_lo, v11, s8
	v_add_co_ci_u32_e32 v24, vcc_lo, s9, v12, vcc_lo
	s_add_u32 s12, s12, 2
	s_addc_u32 s13, s13, 0
	s_delay_alu instid0(SALU_CYCLE_1) | instskip(SKIP_3) | instid1(VALU_DEP_2)
	s_cmp_lg_u64 s[2:3], s[12:13]
	s_waitcnt lgkmcnt(4)
	v_fmac_f32_e32 v25, v6, v9
	v_fma_f32 v9, v5, v9, 0
	v_dual_mov_b32 v16, v26 :: v_dual_fmac_f32 v25, v7, v10
	s_delay_alu instid0(VALU_DEP_2) | instskip(SKIP_1) | instid1(VALU_DEP_2)
	v_fmac_f32_e32 v9, v6, v10
	s_waitcnt lgkmcnt(3)
	v_fmac_f32_e32 v25, v8, v17
	s_delay_alu instid0(VALU_DEP_2) | instskip(NEXT) | instid1(VALU_DEP_1)
	v_fmac_f32_e32 v9, v7, v17
	v_fmac_f32_e32 v9, v8, v18
	s_waitcnt lgkmcnt(2)
	s_delay_alu instid0(VALU_DEP_1) | instskip(NEXT) | instid1(VALU_DEP_1)
	v_fmac_f32_e32 v9, v1, v19
	v_fmac_f32_e32 v9, v2, v20
	s_waitcnt lgkmcnt(1)
	s_delay_alu instid0(VALU_DEP_1) | instskip(NEXT) | instid1(VALU_DEP_1)
	;; [unrolled: 4-line block ×3, first 2 shown]
	v_fmac_f32_e32 v9, v14, v27
	v_add_f32_e32 v9, v15, v9
	v_fmac_f32_e32 v25, v1, v18
	s_delay_alu instid0(VALU_DEP_1) | instskip(NEXT) | instid1(VALU_DEP_1)
	v_fmac_f32_e32 v25, v2, v19
	v_fmac_f32_e32 v25, v3, v20
	s_delay_alu instid0(VALU_DEP_1) | instskip(SKIP_1) | instid1(VALU_DEP_2)
	v_fmac_f32_e32 v25, v4, v21
	v_mul_f32_e32 v21, 0xbfb8aa3b, v9
	v_fmac_f32_e32 v25, v14, v22
	s_delay_alu instid0(VALU_DEP_2) | instskip(NEXT) | instid1(VALU_DEP_2)
	v_fma_f32 v22, 0xbfb8aa3b, v9, -v21
	v_add_f32_e32 v17, v15, v25
	v_rndne_f32_e32 v25, v21
	s_delay_alu instid0(VALU_DEP_3) | instskip(NEXT) | instid1(VALU_DEP_3)
	v_fmac_f32_e32 v22, 0xb2a5705f, v9
	v_mul_f32_e32 v18, 0xbfb8aa3b, v17
	v_cmp_nlt_f32_e32 vcc_lo, 0x42ce8ed0, v17
	v_cmp_ngt_f32_e64 s0, 0xc2b17218, v17
	s_delay_alu instid0(VALU_DEP_3) | instskip(SKIP_1) | instid1(VALU_DEP_1)
	v_fma_f32 v19, 0xbfb8aa3b, v17, -v18
	v_rndne_f32_e32 v20, v18
	v_dual_fmac_f32 v19, 0xb2a5705f, v17 :: v_dual_sub_f32 v18, v18, v20
	v_cvt_i32_f32_e32 v20, v20
	s_delay_alu instid0(VALU_DEP_2) | instskip(SKIP_1) | instid1(VALU_DEP_2)
	v_dual_add_f32 v18, v18, v19 :: v_dual_sub_f32 v19, v21, v25
	v_cvt_i32_f32_e32 v21, v25
	v_exp_f32_e32 v18, v18
	s_delay_alu instid0(VALU_DEP_2) | instskip(NEXT) | instid1(VALU_DEP_1)
	v_add_f32_e32 v19, v19, v22
	v_exp_f32_e32 v19, v19
	s_waitcnt_depctr 0xfff
	v_ldexp_f32 v18, v18, v20
	s_delay_alu instid0(VALU_DEP_1) | instskip(SKIP_2) | instid1(VALU_DEP_3)
	v_cndmask_b32_e32 v18, 0, v18, vcc_lo
	v_ldexp_f32 v19, v19, v21
	v_cmp_nlt_f32_e32 vcc_lo, 0x42ce8ed0, v9
	v_cndmask_b32_e64 v18, 0x7f800000, v18, s0
	s_delay_alu instid0(VALU_DEP_3) | instskip(SKIP_1) | instid1(VALU_DEP_2)
	v_cndmask_b32_e32 v19, 0, v19, vcc_lo
	v_cmp_ngt_f32_e32 vcc_lo, 0xc2b17218, v9
	v_dual_add_f32 v18, 1.0, v18 :: v_dual_cndmask_b32 v19, 0x7f800000, v19
	s_delay_alu instid0(VALU_DEP_1) | instskip(SKIP_1) | instid1(VALU_DEP_3)
	v_div_scale_f32 v20, null, v18, v18, v17
	v_div_scale_f32 v21, vcc_lo, v17, v18, v17
	v_add_f32_e32 v19, 1.0, v19
	s_delay_alu instid0(VALU_DEP_3) | instskip(NEXT) | instid1(VALU_DEP_1)
	v_rcp_f32_e32 v22, v20
	v_div_scale_f32 v25, null, v19, v19, v9
	v_div_scale_f32 v26, s0, v9, v19, v9
	s_delay_alu instid0(VALU_DEP_2) | instskip(SKIP_2) | instid1(VALU_DEP_1)
	v_rcp_f32_e32 v27, v25
	s_waitcnt_depctr 0xfff
	v_fma_f32 v28, -v20, v22, 1.0
	v_fmac_f32_e32 v22, v28, v22
	v_fma_f32 v28, -v25, v27, 1.0
	s_delay_alu instid0(VALU_DEP_2) | instskip(NEXT) | instid1(VALU_DEP_2)
	v_mul_f32_e32 v29, v21, v22
	v_fmac_f32_e32 v27, v28, v27
	s_delay_alu instid0(VALU_DEP_2) | instskip(NEXT) | instid1(VALU_DEP_1)
	v_fma_f32 v28, -v20, v29, v21
	v_dual_mul_f32 v30, v26, v27 :: v_dual_fmac_f32 v29, v28, v22
	s_delay_alu instid0(VALU_DEP_1) | instskip(NEXT) | instid1(VALU_DEP_2)
	v_fma_f32 v28, -v25, v30, v26
	v_fma_f32 v20, -v20, v29, v21
	s_delay_alu instid0(VALU_DEP_2) | instskip(NEXT) | instid1(VALU_DEP_2)
	v_fmac_f32_e32 v30, v28, v27
	v_div_fmas_f32 v20, v20, v22, v29
	s_mov_b32 vcc_lo, s0
	s_delay_alu instid0(VALU_DEP_2) | instskip(NEXT) | instid1(VALU_DEP_2)
	v_fma_f32 v21, -v25, v30, v26
	v_div_fixup_f32 v17, v20, v18, v17
	s_delay_alu instid0(VALU_DEP_2)
	v_div_fmas_f32 v18, v21, v27, v30
	global_store_b32 v[11:12], v17, off
	v_add_co_u32 v11, vcc_lo, v11, s10
	v_add_co_ci_u32_e32 v12, vcc_lo, s11, v12, vcc_lo
	v_div_fixup_f32 v9, v18, v19, v9
	global_store_b32 v[23:24], v9, off
	s_cbranch_scc1 .LBB7_41
; %bb.42:
	s_mov_b64 s[0:1], s[2:3]
.LBB7_43:
	s_and_b32 s2, s20, 1
	s_mov_b32 s3, 0
	s_delay_alu instid0(SALU_CYCLE_1)
	s_cmp_eq_u64 s[2:3], 0
	s_cbranch_scc1 .LBB7_45
; %bb.44:
	v_add_nc_u32_e32 v0, s0, v0
	s_add_u32 s2, s4, s16
	s_addc_u32 s3, s5, s15
	s_add_u32 s2, s2, s19
	s_mul_hi_i32 s1, s0, s6
	v_lshl_add_u32 v0, v0, 2, 0
	s_mul_i32 s0, s0, s6
	s_addc_u32 s3, s3, s18
	s_add_u32 s2, s2, s14
	s_addc_u32 s3, s3, s17
	ds_load_2addr_b32 v[9:10], v0 offset1:1
	ds_load_2addr_b32 v[11:12], v0 offset0:2 offset1:3
	ds_load_2addr_b32 v[16:17], v0 offset0:4 offset1:5
	;; [unrolled: 1-line block ×3, first 2 shown]
	ds_load_b32 v0, v0 offset:32
	s_lshl_b64 s[0:1], s[0:1], 2
	s_delay_alu instid0(SALU_CYCLE_1) | instskip(SKIP_3) | instid1(VALU_DEP_1)
	s_add_u32 s0, s0, s2
	s_addc_u32 s1, s1, s3
	s_waitcnt vmcnt(0) lgkmcnt(4)
	v_fma_f32 v5, v5, v9, 0
	v_fmac_f32_e32 v5, v6, v10
	s_waitcnt lgkmcnt(3)
	s_delay_alu instid0(VALU_DEP_1) | instskip(NEXT) | instid1(VALU_DEP_1)
	v_fmac_f32_e32 v5, v7, v11
	v_fmac_f32_e32 v5, v8, v12
	s_waitcnt lgkmcnt(2)
	s_delay_alu instid0(VALU_DEP_1) | instskip(NEXT) | instid1(VALU_DEP_1)
	v_fmac_f32_e32 v5, v1, v16
	;; [unrolled: 4-line block ×4, first 2 shown]
	v_add_f32_e32 v0, v15, v5
	s_delay_alu instid0(VALU_DEP_1) | instskip(NEXT) | instid1(VALU_DEP_1)
	v_mul_f32_e32 v1, 0xbfb8aa3b, v0
	v_fma_f32 v2, 0xbfb8aa3b, v0, -v1
	v_rndne_f32_e32 v3, v1
	s_delay_alu instid0(VALU_DEP_1) | instskip(SKIP_1) | instid1(VALU_DEP_2)
	v_dual_sub_f32 v1, v1, v3 :: v_dual_fmamk_f32 v2, v0, 0xb2a5705f, v2
	v_cmp_nlt_f32_e32 vcc_lo, 0x42ce8ed0, v0
	v_add_f32_e32 v1, v1, v2
	v_cvt_i32_f32_e32 v2, v3
	s_delay_alu instid0(VALU_DEP_2) | instskip(SKIP_2) | instid1(VALU_DEP_1)
	v_exp_f32_e32 v1, v1
	s_waitcnt_depctr 0xfff
	v_ldexp_f32 v1, v1, v2
	v_cndmask_b32_e32 v1, 0, v1, vcc_lo
	v_cmp_ngt_f32_e32 vcc_lo, 0xc2b17218, v0
	s_delay_alu instid0(VALU_DEP_2) | instskip(NEXT) | instid1(VALU_DEP_1)
	v_cndmask_b32_e32 v1, 0x7f800000, v1, vcc_lo
	v_add_f32_e32 v1, 1.0, v1
	s_delay_alu instid0(VALU_DEP_1) | instskip(SKIP_1) | instid1(VALU_DEP_2)
	v_div_scale_f32 v2, null, v1, v1, v0
	v_div_scale_f32 v5, vcc_lo, v0, v1, v0
	v_rcp_f32_e32 v3, v2
	s_waitcnt_depctr 0xfff
	v_fma_f32 v4, -v2, v3, 1.0
	s_delay_alu instid0(VALU_DEP_1) | instskip(NEXT) | instid1(VALU_DEP_1)
	v_fmac_f32_e32 v3, v4, v3
	v_mul_f32_e32 v4, v5, v3
	s_delay_alu instid0(VALU_DEP_1) | instskip(NEXT) | instid1(VALU_DEP_1)
	v_fma_f32 v6, -v2, v4, v5
	v_fmac_f32_e32 v4, v6, v3
	s_delay_alu instid0(VALU_DEP_1) | instskip(NEXT) | instid1(VALU_DEP_1)
	v_fma_f32 v2, -v2, v4, v5
	v_div_fmas_f32 v2, v2, v3, v4
	s_delay_alu instid0(VALU_DEP_1)
	v_div_fixup_f32 v0, v2, v1, v0
	global_store_b32 v13, v0, s[0:1]
.LBB7_45:
	s_nop 0
	s_sendmsg sendmsg(MSG_DEALLOC_VGPRS)
	s_endpgm
	.section	.rodata,"a",@progbits
	.p2align	6, 0x0
	.amdhsa_kernel _ZL23ssm_conv_long_token_f32ILb1ELm128ELm9ELl32EEvPKfS1_S1_iiiiPfiiil
		.amdhsa_group_segment_fixed_size 0
		.amdhsa_private_segment_fixed_size 0
		.amdhsa_kernarg_size 72
		.amdhsa_user_sgpr_count 13
		.amdhsa_user_sgpr_dispatch_ptr 0
		.amdhsa_user_sgpr_queue_ptr 0
		.amdhsa_user_sgpr_kernarg_segment_ptr 1
		.amdhsa_user_sgpr_dispatch_id 0
		.amdhsa_user_sgpr_private_segment_size 0
		.amdhsa_wavefront_size32 1
		.amdhsa_uses_dynamic_stack 0
		.amdhsa_enable_private_segment 0
		.amdhsa_system_sgpr_workgroup_id_x 1
		.amdhsa_system_sgpr_workgroup_id_y 1
		.amdhsa_system_sgpr_workgroup_id_z 1
		.amdhsa_system_sgpr_workgroup_info 0
		.amdhsa_system_vgpr_workitem_id 0
		.amdhsa_next_free_vgpr 92
		.amdhsa_next_free_sgpr 24
		.amdhsa_reserve_vcc 1
		.amdhsa_float_round_mode_32 0
		.amdhsa_float_round_mode_16_64 0
		.amdhsa_float_denorm_mode_32 3
		.amdhsa_float_denorm_mode_16_64 3
		.amdhsa_dx10_clamp 1
		.amdhsa_ieee_mode 1
		.amdhsa_fp16_overflow 0
		.amdhsa_workgroup_processor_mode 1
		.amdhsa_memory_ordered 1
		.amdhsa_forward_progress 0
		.amdhsa_shared_vgpr_count 0
		.amdhsa_exception_fp_ieee_invalid_op 0
		.amdhsa_exception_fp_denorm_src 0
		.amdhsa_exception_fp_ieee_div_zero 0
		.amdhsa_exception_fp_ieee_overflow 0
		.amdhsa_exception_fp_ieee_underflow 0
		.amdhsa_exception_fp_ieee_inexact 0
		.amdhsa_exception_int_div_zero 0
	.end_amdhsa_kernel
	.section	.text._ZL23ssm_conv_long_token_f32ILb1ELm128ELm9ELl32EEvPKfS1_S1_iiiiPfiiil,"axG",@progbits,_ZL23ssm_conv_long_token_f32ILb1ELm128ELm9ELl32EEvPKfS1_S1_iiiiPfiiil,comdat
.Lfunc_end7:
	.size	_ZL23ssm_conv_long_token_f32ILb1ELm128ELm9ELl32EEvPKfS1_S1_iiiiPfiiil, .Lfunc_end7-_ZL23ssm_conv_long_token_f32ILb1ELm128ELm9ELl32EEvPKfS1_S1_iiiiPfiiil
                                        ; -- End function
	.section	.AMDGPU.csdata,"",@progbits
; Kernel info:
; codeLenInByte = 8080
; NumSgprs: 26
; NumVgprs: 92
; ScratchSize: 0
; MemoryBound: 0
; FloatMode: 240
; IeeeMode: 1
; LDSByteSize: 0 bytes/workgroup (compile time only)
; SGPRBlocks: 3
; VGPRBlocks: 11
; NumSGPRsForWavesPerEU: 26
; NumVGPRsForWavesPerEU: 92
; Occupancy: 16
; WaveLimiterHint : 0
; COMPUTE_PGM_RSRC2:SCRATCH_EN: 0
; COMPUTE_PGM_RSRC2:USER_SGPR: 13
; COMPUTE_PGM_RSRC2:TRAP_HANDLER: 0
; COMPUTE_PGM_RSRC2:TGID_X_EN: 1
; COMPUTE_PGM_RSRC2:TGID_Y_EN: 1
; COMPUTE_PGM_RSRC2:TGID_Z_EN: 1
; COMPUTE_PGM_RSRC2:TIDIG_COMP_CNT: 0
	.section	.text._ZL12ssm_conv_f32ILb1ELm128ELm15EEvPKfS1_S1_iiiiPfiiil,"axG",@progbits,_ZL12ssm_conv_f32ILb1ELm128ELm15EEvPKfS1_S1_iiiiPfiiil,comdat
	.globl	_ZL12ssm_conv_f32ILb1ELm128ELm15EEvPKfS1_S1_iiiiPfiiil ; -- Begin function _ZL12ssm_conv_f32ILb1ELm128ELm15EEvPKfS1_S1_iiiiPfiiil
	.p2align	8
	.type	_ZL12ssm_conv_f32ILb1ELm128ELm15EEvPKfS1_S1_iiiiPfiiil,@function
_ZL12ssm_conv_f32ILb1ELm128ELm15EEvPKfS1_S1_iiiiPfiiil: ; @_ZL12ssm_conv_f32ILb1ELm128ELm15EEvPKfS1_S1_iiiiPfiiil
; %bb.0:
	s_load_b64 s[4:5], s[0:1], 0x10
	s_mov_b32 s2, s15
	s_ashr_i32 s3, s15, 31
	v_lshlrev_b32_e32 v15, 2, v0
	s_lshl_b64 s[18:19], s[2:3], 7
	s_waitcnt lgkmcnt(0)
	s_cmp_eq_u64 s[4:5], 0
	s_cbranch_scc1 .LBB8_2
; %bb.1:
	s_lshl_b64 s[6:7], s[18:19], 2
	s_delay_alu instid0(SALU_CYCLE_1)
	s_add_u32 s4, s4, s6
	s_addc_u32 s5, s5, s7
	global_load_b32 v35, v15, s[4:5]
	s_load_b64 s[12:13], s[0:1], 0x40
	s_waitcnt lgkmcnt(0)
	v_cmp_lt_i64_e64 s4, s[12:13], 1
	s_delay_alu instid0(VALU_DEP_1)
	s_and_b32 vcc_lo, exec_lo, s4
	s_cbranch_vccz .LBB8_3
	s_branch .LBB8_6
.LBB8_2:
	v_mov_b32_e32 v35, 0
	s_load_b64 s[12:13], s[0:1], 0x40
	s_waitcnt lgkmcnt(0)
	v_cmp_lt_i64_e64 s4, s[12:13], 1
	s_delay_alu instid0(VALU_DEP_1)
	s_and_b32 vcc_lo, exec_lo, s4
	s_cbranch_vccnz .LBB8_6
.LBB8_3:
	s_clause 0x1
	s_load_b128 s[8:11], s[0:1], 0x1c
	s_load_b128 s[4:7], s[0:1], 0x30
	v_alignbit_b32 v1, s3, s2, 25
	s_clause 0x1
	s_load_b64 s[16:17], s[0:1], 0x28
	s_load_b128 s[0:3], s[0:1], 0x0
	s_waitcnt lgkmcnt(0)
	s_ashr_i32 s23, s8, 31
	s_ashr_i32 s7, s10, 31
	s_mul_hi_u32 s24, s18, s8
	s_mul_i32 s23, s18, s23
	s_mul_hi_u32 s21, s18, s10
	s_mul_i32 s11, s14, s9
	s_mul_i32 s25, s19, s8
	;; [unrolled: 1-line block ×4, first 2 shown]
	s_add_i32 s23, s24, s23
	s_ashr_i32 s22, s10, 2
	s_ashr_i32 s20, s11, 31
	;; [unrolled: 1-line block ×3, first 2 shown]
	s_add_i32 s24, s21, s7
	s_add_i32 s21, s23, s25
	s_add_u32 s7, s16, s9
	s_addc_u32 s23, s17, s14
	s_ashr_i32 s25, s4, 31
	s_mul_hi_u32 s6, s18, s4
	s_mul_i32 s25, s18, s25
	s_mul_i32 s19, s19, s4
	s_add_i32 s6, s6, s25
	s_mul_i32 s4, s18, s4
	s_add_i32 s19, s6, s19
	s_add_u32 s6, s7, s4
	s_addc_u32 s7, s23, s19
	v_mul_lo_u32 v3, v1, s10
	s_mul_i32 s15, s18, s8
	v_mul_lo_u32 v1, s22, v0
	s_add_u32 s22, s0, s11
	s_addc_u32 s23, s1, s20
	s_add_u32 s22, s22, s15
	s_addc_u32 s23, s23, s21
	s_ashr_i32 s8, s8, 2
	v_add_nc_u32_e32 v4, s24, v3
	v_mul_lo_u32 v0, s8, v0
	v_ashrrev_i32_e32 v2, 31, v1
	s_mul_i32 s8, s18, s10
	s_cmp_eq_u64 s[12:13], 1
	v_add_co_u32 v5, vcc_lo, s2, s8
	s_delay_alu instid0(VALU_DEP_2) | instskip(SKIP_2) | instid1(VALU_DEP_3)
	v_lshlrev_b64 v[2:3], 2, v[1:2]
	v_add_co_ci_u32_e32 v4, vcc_lo, s3, v4, vcc_lo
	v_ashrrev_i32_e32 v1, 31, v0
	v_add_co_u32 v12, vcc_lo, v5, v2
	s_delay_alu instid0(VALU_DEP_2) | instskip(NEXT) | instid1(VALU_DEP_4)
	v_lshlrev_b64 v[31:32], 2, v[0:1]
	v_add_co_ci_u32_e32 v13, vcc_lo, v4, v3, vcc_lo
	s_delay_alu instid0(VALU_DEP_2) | instskip(NEXT) | instid1(VALU_DEP_3)
	v_add_co_u32 v33, vcc_lo, s22, v31
	v_add_co_ci_u32_e32 v34, vcc_lo, s23, v32, vcc_lo
	global_load_b128 v[16:19], v[12:13], off
	global_load_b128 v[0:3], v[33:34], off
	global_load_b128 v[20:23], v[12:13], off offset:16
	global_load_b128 v[4:7], v[33:34], off offset:16
	;; [unrolled: 1-line block ×4, first 2 shown]
	global_load_b96 v[28:30], v[12:13], off offset:48
	global_load_b96 v[12:14], v[33:34], off offset:48
	s_waitcnt vmcnt(6)
	v_fma_f32 v33, v16, v0, 0
	s_delay_alu instid0(VALU_DEP_1) | instskip(NEXT) | instid1(VALU_DEP_1)
	v_fmac_f32_e32 v33, v17, v1
	v_fmac_f32_e32 v33, v18, v2
	s_delay_alu instid0(VALU_DEP_1) | instskip(SKIP_1) | instid1(VALU_DEP_1)
	v_fmac_f32_e32 v33, v19, v3
	s_waitcnt vmcnt(4)
	v_fmac_f32_e32 v33, v20, v4
	s_delay_alu instid0(VALU_DEP_1) | instskip(NEXT) | instid1(VALU_DEP_1)
	v_fmac_f32_e32 v33, v21, v5
	v_fmac_f32_e32 v33, v22, v6
	s_delay_alu instid0(VALU_DEP_1) | instskip(SKIP_1) | instid1(VALU_DEP_1)
	v_fmac_f32_e32 v33, v23, v7
	s_waitcnt vmcnt(2)
	v_fmac_f32_e32 v33, v24, v8
	;; [unrolled: 7-line block ×3, first 2 shown]
	s_delay_alu instid0(VALU_DEP_1) | instskip(NEXT) | instid1(VALU_DEP_1)
	v_fmac_f32_e32 v33, v29, v13
	v_fmac_f32_e32 v33, v30, v14
	s_delay_alu instid0(VALU_DEP_1) | instskip(NEXT) | instid1(VALU_DEP_1)
	v_add_f32_e32 v33, v35, v33
	v_mul_f32_e32 v34, 0xbfb8aa3b, v33
	v_cmp_nlt_f32_e32 vcc_lo, 0x42ce8ed0, v33
	s_delay_alu instid0(VALU_DEP_2) | instskip(SKIP_1) | instid1(VALU_DEP_2)
	v_fma_f32 v36, 0xbfb8aa3b, v33, -v34
	v_rndne_f32_e32 v37, v34
	v_fmac_f32_e32 v36, 0xb2a5705f, v33
	s_delay_alu instid0(VALU_DEP_2) | instskip(NEXT) | instid1(VALU_DEP_1)
	v_sub_f32_e32 v34, v34, v37
	v_add_f32_e32 v34, v34, v36
	v_cvt_i32_f32_e32 v36, v37
	s_delay_alu instid0(VALU_DEP_2) | instskip(SKIP_2) | instid1(VALU_DEP_1)
	v_exp_f32_e32 v34, v34
	s_waitcnt_depctr 0xfff
	v_ldexp_f32 v34, v34, v36
	v_cndmask_b32_e32 v34, 0, v34, vcc_lo
	v_cmp_ngt_f32_e32 vcc_lo, 0xc2b17218, v33
	s_delay_alu instid0(VALU_DEP_2) | instskip(NEXT) | instid1(VALU_DEP_1)
	v_cndmask_b32_e32 v34, 0x7f800000, v34, vcc_lo
	v_add_f32_e32 v34, 1.0, v34
	s_delay_alu instid0(VALU_DEP_1) | instskip(NEXT) | instid1(VALU_DEP_1)
	v_div_scale_f32 v36, null, v34, v34, v33
	v_rcp_f32_e32 v37, v36
	s_waitcnt_depctr 0xfff
	v_fma_f32 v38, -v36, v37, 1.0
	s_delay_alu instid0(VALU_DEP_1) | instskip(SKIP_1) | instid1(VALU_DEP_1)
	v_fmac_f32_e32 v37, v38, v37
	v_div_scale_f32 v38, vcc_lo, v33, v34, v33
	v_mul_f32_e32 v39, v38, v37
	s_delay_alu instid0(VALU_DEP_1) | instskip(NEXT) | instid1(VALU_DEP_1)
	v_fma_f32 v40, -v36, v39, v38
	v_fmac_f32_e32 v39, v40, v37
	s_delay_alu instid0(VALU_DEP_1) | instskip(NEXT) | instid1(VALU_DEP_1)
	v_fma_f32 v36, -v36, v39, v38
	v_div_fmas_f32 v36, v36, v37, v39
	s_delay_alu instid0(VALU_DEP_1)
	v_div_fixup_f32 v33, v36, v34, v33
	global_store_b32 v15, v33, s[6:7]
	s_cbranch_scc1 .LBB8_6
; %bb.4:
	s_ashr_i32 s2, s5, 2
                                        ; implicit-def: $vgpr46 : SGPR spill to VGPR lane
	s_mov_b64 s[22:23], 8
	s_ashr_i32 s3, s2, 31
	s_add_u32 s0, s0, s11
	s_addc_u32 s1, s1, s20
	s_add_u32 s0, s0, s15
	s_addc_u32 s1, s1, s21
	v_add_co_u32 v31, vcc_lo, s0, v31
	s_add_u32 s0, s12, -1
	v_add_co_ci_u32_e32 v32, vcc_lo, s1, v32, vcc_lo
	s_addc_u32 s1, s13, -1
	s_lshl_b64 s[2:3], s[2:3], 2
	v_add_co_u32 v31, vcc_lo, v31, 60
	s_add_u32 s4, s4, s2
	s_addc_u32 s5, s19, s3
	s_add_u32 s6, s16, s9
	s_addc_u32 s7, s17, s14
	;; [unrolled: 2-line block ×3, first 2 shown]
	v_add_co_u32 v33, s4, s4, v15
	v_writelane_b32 v46, s0, 0
	v_add_co_ci_u32_e32 v32, vcc_lo, 0, v32, vcc_lo
	v_add_co_ci_u32_e64 v34, null, s5, 0, s4
	s_mov_b64 s[4:5], 1
	s_mov_b64 s[6:7], 0
	;; [unrolled: 1-line block ×15, first 2 shown]
	v_writelane_b32 v46, s1, 1
.LBB8_5:                                ; =>This Inner Loop Header: Depth=1
	s_add_u32 s33, 0, 0x11108400
	s_addc_u32 s38, 0, 49
	s_mul_hi_u32 s40, s33, -15
	s_add_i32 s38, s38, 0x111110e0
	s_sub_i32 s40, s40, s33
	s_mul_i32 s43, s38, -15
	s_mul_i32 s39, s33, -15
	s_add_i32 s40, s40, s43
	s_mul_hi_u32 s41, s33, s39
	s_mul_i32 s44, s33, s40
	s_mul_hi_u32 s43, s33, s40
	s_mul_hi_u32 s42, s38, s39
	s_mul_i32 s39, s38, s39
	s_add_u32 s41, s41, s44
	s_addc_u32 s43, 0, s43
	s_mul_hi_u32 s45, s38, s40
	s_add_u32 s39, s41, s39
	s_mul_i32 s40, s38, s40
	s_addc_u32 s39, s43, s42
	s_addc_u32 s41, s45, 0
	s_add_u32 s39, s39, s40
	s_addc_u32 s40, 0, s41
	v_add_co_u32 v36, s33, s33, s39
	s_delay_alu instid0(VALU_DEP_1)
	s_cmp_lg_u32 s33, 0
	global_load_b32 v15, v[31:32], off
	s_addc_u32 s43, s38, s40
	v_readfirstlane_b32 s65, v36
	s_mul_i32 s42, s4, s43
	s_mul_hi_u32 s41, s4, s43
	s_mul_hi_u32 s76, s5, s43
	s_mul_i32 s82, s5, s43
	s_mul_hi_u32 s100, s4, s65
	s_mul_i32 s85, s8, s43
	s_add_u32 s42, s100, s42
	s_mul_i32 s100, s5, s65
	s_addc_u32 s41, 0, s41
	s_add_u32 s42, s42, s100
	s_mul_hi_u32 s42, s5, s65
	s_mul_hi_u32 s84, s8, s43
	s_addc_u32 s41, s41, s42
	s_addc_u32 s42, s76, 0
	s_add_u32 s76, s41, s82
	s_addc_u32 s41, 0, s42
	s_mul_i32 s82, s76, 15
	s_mul_hi_u32 s42, s76, 15
	v_sub_co_u32 v36, s82, s4, s82
	s_mul_i32 s41, s41, 15
	s_mul_hi_u32 s86, s9, s43
	s_add_i32 s42, s42, s41
	s_delay_alu instid0(VALU_DEP_1) | instskip(SKIP_3) | instid1(VALU_DEP_1)
	v_sub_co_u32 v37, s41, v36, 15
	s_cmp_lg_u32 s82, 0
	s_mul_i32 s87, s9, s43
	s_subb_u32 s42, s5, s42
	v_readfirstlane_b32 s82, v37
	s_cmp_lg_u32 s41, 0
	s_mul_i32 s89, s10, s43
	s_subb_u32 s41, s42, 0
	s_mul_hi_u32 s88, s10, s43
	s_cmp_gt_u32 s82, 14
	s_mul_hi_u32 s90, s11, s43
	s_cselect_b32 s82, -1, 0
	s_cmp_eq_u32 s41, 0
	s_mul_i32 s91, s11, s43
	s_cselect_b32 s41, s82, -1
	s_add_i32 s82, s76, 1
	s_add_i32 s100, s76, 2
	s_cmp_lg_u32 s41, 0
	s_mul_i32 s93, s12, s43
	s_cselect_b32 s82, s100, s82
	v_readfirstlane_b32 s100, v36
	s_mul_hi_u32 s92, s12, s43
	s_mul_hi_u32 s94, s13, s43
	s_mul_i32 s95, s13, s43
	s_mul_i32 s97, s14, s43
	s_cmp_gt_u32 s100, 14
	s_mul_hi_u32 s96, s14, s43
	s_cselect_b32 s100, -1, 0
	s_cmp_eq_u32 s42, 0
	s_mul_hi_u32 s98, s15, s43
	s_cselect_b32 s100, s100, -1
	s_mul_i32 s99, s15, s43
	s_cmp_lg_u32 s100, 0
	s_mul_hi_u32 s100, s8, s65
	s_cselect_b32 s76, s82, s76
	s_add_u32 s85, s100, s85
	s_mul_i32 s100, s9, s65
	s_mul_hi_u32 s82, s9, s65
	s_addc_u32 s84, 0, s84
	s_add_u32 s85, s85, s100
	s_addc_u32 s82, s84, s82
	s_addc_u32 s84, s86, 0
	s_add_u32 s82, s82, s87
	s_addc_u32 s84, 0, s84
	s_mul_i32 s87, s82, 15
	s_mul_hi_u32 s86, s82, 15
	s_mul_i32 s84, s84, 15
	v_sub_co_u32 v36, s87, s8, s87
	s_add_i32 s86, s86, s84
	s_cmp_lg_u32 s87, 0
	s_mul_hi_u32 s85, s10, s65
	s_subb_u32 s84, s9, s86
	v_sub_co_u32 v37, s86, v36, 15
	s_delay_alu instid0(VALU_DEP_1) | instskip(SKIP_2) | instid1(VALU_DEP_1)
	s_cmp_lg_u32 s86, 0
	s_mul_i32 s83, s16, s43
	s_subb_u32 s86, s84, 0
	v_readfirstlane_b32 s87, v37
	s_mul_hi_u32 s81, s16, s43
	s_mul_hi_u32 s79, s17, s43
	s_mul_i32 s80, s17, s43
	s_mul_i32 s78, s18, s43
	s_cmp_gt_u32 s87, 14
	s_mul_hi_u32 s77, s18, s43
	s_cselect_b32 s87, -1, 0
	s_cmp_eq_u32 s86, 0
	s_mul_hi_u32 s74, s19, s43
	s_cselect_b32 s86, s87, -1
	s_add_i32 s87, s82, 1
	s_add_i32 s100, s82, 2
	s_cmp_lg_u32 s86, 0
	s_mul_hi_u32 s86, s11, s65
	s_cselect_b32 s87, s100, s87
	v_readfirstlane_b32 s100, v36
	s_mul_i32 s75, s19, s43
	s_mul_i32 s0, s20, s43
	s_mul_hi_u32 s72, s20, s43
	s_mul_hi_u32 s101, s21, s65
	s_cmp_gt_u32 s100, 14
	s_mul_hi_u32 s70, s21, s43
	s_cselect_b32 s100, -1, 0
	s_cmp_eq_u32 s84, 0
	s_mul_i32 s84, s11, s65
	s_cselect_b32 s100, s100, -1
	s_mul_i32 s71, s21, s43
	s_cmp_lg_u32 s100, 0
	s_mul_hi_u32 s100, s12, s65
	s_cselect_b32 s82, s87, s82
	s_add_u32 s85, s85, s89
	s_addc_u32 s88, 0, s88
	s_add_u32 s84, s85, s84
	s_addc_u32 s85, s88, s86
	s_addc_u32 s86, s90, 0
	s_add_u32 s85, s85, s91
	s_addc_u32 s86, 0, s86
	s_mul_i32 s90, s85, 15
	s_mul_hi_u32 s88, s85, 15
	s_mul_i32 s86, s86, 15
	v_sub_co_u32 v36, s90, s10, s90
	s_add_i32 s88, s88, s86
	s_cmp_lg_u32 s90, 0
	s_mul_i32 s89, s13, s65
	s_subb_u32 s86, s11, s88
	v_sub_co_u32 v37, s88, v36, 15
	s_delay_alu instid0(VALU_DEP_1) | instskip(SKIP_2) | instid1(VALU_DEP_1)
	s_cmp_lg_u32 s88, 0
	s_mul_hi_u32 s87, s13, s65
	s_subb_u32 s88, s86, 0
	v_readfirstlane_b32 s90, v37
	s_mul_hi_u32 s84, s14, s65
	s_mul_i32 s69, s22, s43
	s_mul_hi_u32 s68, s22, s43
	s_mul_hi_u32 s66, s23, s43
	s_cmp_gt_u32 s90, 14
	s_mul_i32 s67, s23, s43
	s_cselect_b32 s90, -1, 0
	s_cmp_eq_u32 s88, 0
	v_add_co_u32 v31, vcc_lo, v31, 4
	s_cselect_b32 s88, s90, -1
	s_add_i32 s90, s85, 1
	s_add_i32 s91, s85, 2
	s_cmp_lg_u32 s88, 0
	s_mul_hi_u32 s88, s15, s65
	s_cselect_b32 s90, s91, s90
	v_readfirstlane_b32 s91, v36
	v_add_co_ci_u32_e32 v32, vcc_lo, 0, v32, vcc_lo
	s_mul_hi_u32 s103, s25, s65
	s_mul_hi_u32 s104, s27, s65
	s_delay_alu instid0(VALU_DEP_2)
	s_cmp_gt_u32 s91, 14
	s_mul_i32 vcc_lo, s27, s65
	s_cselect_b32 s91, -1, 0
	s_cmp_eq_u32 s86, 0
	s_mul_i32 s86, s15, s65
	s_cselect_b32 s91, s91, -1
	s_mul_hi_u32 vcc_hi, s28, s65
	s_cmp_lg_u32 s91, 0
	s_mul_hi_u32 s91, s16, s65
	s_cselect_b32 s90, s90, s85
	s_add_u32 s93, s100, s93
	s_addc_u32 s92, 0, s92
	s_add_u32 s89, s93, s89
	s_addc_u32 s87, s92, s87
	s_addc_u32 s92, s94, 0
	s_add_u32 s87, s87, s95
	s_addc_u32 s92, 0, s92
	s_mul_i32 s94, s87, 15
	s_mul_hi_u32 s93, s87, 15
	s_mul_i32 s92, s92, 15
	v_sub_co_u32 v36, s94, s12, s94
	s_add_i32 s93, s93, s92
	s_cmp_lg_u32 s94, 0
	s_mul_i32 s100, s17, s65
	s_subb_u32 s92, s13, s93
	v_sub_co_u32 v37, s93, v36, 15
	s_delay_alu instid0(VALU_DEP_1) | instskip(SKIP_2) | instid1(VALU_DEP_1)
	s_cmp_lg_u32 s93, 0
	s_mul_hi_u32 s85, s17, s65
	s_subb_u32 s93, s92, 0
	v_readfirstlane_b32 s94, v37
	s_mul_hi_u32 s89, s18, s65
	s_mul_hi_u32 s1, s29, s65
	s_mul_i32 s64, s24, s43
	s_mul_hi_u32 s63, s24, s43
	s_cmp_gt_u32 s94, 14
	s_mul_hi_u32 s61, s25, s43
	s_cselect_b32 s94, -1, 0
	s_cmp_eq_u32 s93, 0
	s_mul_i32 s62, s25, s43
	s_cselect_b32 s93, s94, -1
	s_add_i32 s94, s87, 1
	s_add_i32 s95, s87, 2
	s_cmp_lg_u32 s93, 0
	s_mul_hi_u32 s93, s19, s65
	s_cselect_b32 s94, s95, s94
	v_readfirstlane_b32 s95, v36
	s_mul_i32 s60, s26, s43
	s_mul_hi_u32 s59, s26, s43
	s_mul_hi_u32 s57, s27, s43
	s_mul_i32 s58, s27, s43
	s_cmp_gt_u32 s95, 14
	s_mul_i32 s56, s28, s43
	s_cselect_b32 s95, -1, 0
	s_cmp_eq_u32 s92, 0
	s_mul_i32 s92, s19, s65
	s_cselect_b32 s95, s95, -1
	s_mul_hi_u32 s55, s28, s43
	s_cmp_lg_u32 s95, 0
	s_mul_hi_u32 s95, s20, s65
	s_cselect_b32 s94, s94, s87
	s_add_u32 s84, s84, s97
	s_addc_u32 s87, 0, s96
	s_add_u32 s84, s84, s86
	s_addc_u32 s84, s87, s88
	s_addc_u32 s86, s98, 0
	s_add_u32 s84, s84, s99
	s_addc_u32 s86, 0, s86
	s_mul_i32 s88, s84, 15
	s_mul_hi_u32 s87, s84, 15
	s_mul_i32 s86, s86, 15
	v_sub_co_u32 v36, s88, s14, s88
	s_add_i32 s87, s87, s86
	s_cmp_lg_u32 s88, 0
	s_mul_i32 s97, s21, s65
	s_subb_u32 s86, s15, s87
	v_sub_co_u32 v37, s87, v36, 15
	s_delay_alu instid0(VALU_DEP_1) | instskip(SKIP_2) | instid1(VALU_DEP_1)
	s_cmp_lg_u32 s87, 0
	s_mul_hi_u32 s96, s22, s65
	s_subb_u32 s87, s86, 0
	v_readfirstlane_b32 s88, v37
	s_mul_hi_u32 s99, s23, s65
	s_mul_hi_u32 s53, s29, s43
	s_mul_i32 s54, s29, s43
	s_mul_i32 s52, s30, s43
	s_cmp_gt_u32 s88, 14
	s_mul_hi_u32 s51, s30, s43
	s_cselect_b32 s88, -1, 0
	s_cmp_eq_u32 s87, 0
	s_mul_hi_u32 s49, s31, s43
	s_cselect_b32 s87, s88, -1
	s_add_i32 s88, s84, 1
	s_add_i32 s98, s84, 2
	s_cmp_lg_u32 s87, 0
	s_mul_i32 s50, s31, s43
	s_cselect_b32 s87, s98, s88
	v_readfirstlane_b32 s88, v36
	s_mul_i32 s98, s23, s65
	s_mul_i32 s48, s34, s43
	s_mul_hi_u32 s47, s34, s43
	s_mul_hi_u32 s45, s35, s43
	s_cmp_gt_u32 s88, 14
	s_mul_i32 s46, s35, s43
	s_cselect_b32 s88, -1, 0
	s_cmp_eq_u32 s86, 0
	s_mul_i32 s44, s36, s43
	s_cselect_b32 s86, s88, -1
	s_mul_hi_u32 s88, s24, s65
	s_cmp_lg_u32 s86, 0
	s_mul_i32 s86, s35, s65
	s_cselect_b32 s102, s87, s84
	s_add_u32 s83, s91, s83
	s_addc_u32 s81, 0, s81
	s_add_u32 s83, s83, s100
	s_addc_u32 s81, s81, s85
	s_addc_u32 s79, s79, 0
	s_add_u32 s80, s81, s80
	s_addc_u32 s79, 0, s79
	s_mul_i32 s83, s80, 15
	s_mul_hi_u32 s81, s80, 15
	s_mul_i32 s79, s79, 15
	v_sub_co_u32 v36, s83, s16, s83
	s_add_i32 s81, s81, s79
	s_cmp_lg_u32 s83, 0
	s_mul_i32 s91, s25, s65
	s_subb_u32 s79, s17, s81
	v_sub_co_u32 v37, s81, v36, 15
	s_delay_alu instid0(VALU_DEP_1) | instskip(SKIP_2) | instid1(VALU_DEP_1)
	s_cmp_lg_u32 s81, 0
	s_mul_hi_u32 s100, s26, s65
	s_subb_u32 s81, s79, 0
	v_readfirstlane_b32 s83, v37
	s_mul_hi_u32 s87, s30, s65
	s_mul_hi_u32 s85, s34, s65
	;; [unrolled: 1-line block ×4, first 2 shown]
	s_cmp_gt_u32 s83, 14
	s_mul_i32 s39, s37, s43
	s_cselect_b32 s83, -1, 0
	s_cmp_eq_u32 s81, 0
	s_mul_i32 s41, s6, s43
	s_cselect_b32 s81, s83, -1
	s_add_i32 s83, s80, 1
	s_add_i32 s84, s80, 2
	s_cmp_lg_u32 s81, 0
	s_mul_hi_u32 s33, s6, s43
	s_cselect_b32 s81, s84, s83
	v_readfirstlane_b32 s83, v36
	s_mul_i32 s84, s37, s65
	s_mul_hi_u32 s42, s7, s43
	s_mul_i32 s43, s7, s43
	s_delay_alu instid0(VALU_DEP_1)
	s_cmp_gt_u32 s83, 14
	s_cselect_b32 s83, -1, 0
	s_cmp_eq_u32 s79, 0
	s_cselect_b32 s79, s83, -1
	s_mul_hi_u32 s83, s35, s65
	s_cmp_lg_u32 s79, 0
	s_cselect_b32 s73, s81, s80
	s_add_u32 s78, s89, s78
	s_addc_u32 s77, 0, s77
	s_add_u32 s78, s78, s92
	s_addc_u32 s77, s77, s93
	s_addc_u32 s74, s74, 0
	s_add_u32 s75, s77, s75
	s_addc_u32 s74, 0, s74
	s_mul_i32 s78, s75, 15
	s_mul_hi_u32 s77, s75, 15
	s_mul_i32 s74, s74, 15
	v_sub_co_u32 v36, s78, s18, s78
	s_add_i32 s77, s77, s74
	s_cmp_lg_u32 s78, 0
	s_mul_i32 s89, s29, s65
	s_subb_u32 s74, s19, s77
	v_sub_co_u32 v37, s77, v36, 15
	s_delay_alu instid0(VALU_DEP_1) | instskip(SKIP_2) | instid1(VALU_DEP_1)
	s_cmp_lg_u32 s77, 0
	s_mul_hi_u32 s92, s31, s65
	s_subb_u32 s77, s74, 0
	v_readfirstlane_b32 s78, v37
	s_mul_i32 s93, s31, s65
	s_mul_hi_u32 s80, s36, s65
	s_mul_hi_u32 s81, s37, s65
	s_mul_i32 s73, s73, 15
	s_cmp_gt_u32 s78, 14
	s_cselect_b32 s78, -1, 0
	s_cmp_eq_u32 s77, 0
	s_cselect_b32 s77, s78, -1
	s_add_i32 s78, s75, 1
	s_add_i32 s79, s75, 2
	s_cmp_lg_u32 s77, 0
	s_cselect_b32 s77, s79, s78
	v_readfirstlane_b32 s78, v36
	s_mul_i32 s79, s7, s65
	s_delay_alu instid0(VALU_DEP_1)
	s_cmp_gt_u32 s78, 14
	s_cselect_b32 s78, -1, 0
	s_cmp_eq_u32 s74, 0
	s_cselect_b32 s74, s78, -1
	s_mul_hi_u32 s78, s6, s65
	s_cmp_lg_u32 s74, 0
	s_cselect_b32 s74, s77, s75
	s_add_u32 s0, s95, s0
	s_addc_u32 s72, 0, s72
	s_add_u32 s0, s0, s97
	s_addc_u32 s0, s72, s101
	s_addc_u32 s70, s70, 0
	s_add_u32 s0, s0, s71
	s_addc_u32 s70, 0, s70
	s_mul_i32 s72, s0, 15
	s_mul_hi_u32 s71, s0, 15
	s_mul_i32 s70, s70, 15
	v_sub_co_u32 v36, s72, s20, s72
	s_add_i32 s71, s71, s70
	s_cmp_lg_u32 s72, 0
	s_mul_hi_u32 s77, s7, s65
	s_subb_u32 s70, s21, s71
	v_sub_co_u32 v37, s71, v36, 15
	s_delay_alu instid0(VALU_DEP_1) | instskip(SKIP_2) | instid1(VALU_DEP_1)
	s_cmp_lg_u32 s71, 0
	s_mul_i32 s65, s82, 15
	s_subb_u32 s71, s70, 0
	v_readfirstlane_b32 s72, v37
	s_mul_i32 s74, s74, 15
	s_delay_alu instid0(VALU_DEP_1)
	s_cmp_gt_u32 s72, 14
	s_cselect_b32 s72, -1, 0
	s_cmp_eq_u32 s71, 0
	s_cselect_b32 s71, s72, -1
	s_add_i32 s72, s0, 1
	s_add_i32 s75, s0, 2
	s_cmp_lg_u32 s71, 0
	s_cselect_b32 s71, s75, s72
	v_readfirstlane_b32 s72, v36
	s_mul_i32 s75, s76, 15
	s_delay_alu instid0(VALU_DEP_1)
	s_cmp_gt_u32 s72, 14
	s_cselect_b32 s72, -1, 0
	s_cmp_eq_u32 s70, 0
	s_cselect_b32 s70, s72, -1
	s_mul_i32 s72, s102, 15
	s_cmp_lg_u32 s70, 0
	s_mul_i32 s70, s90, 15
	s_cselect_b32 s0, s71, s0
	s_add_u32 s69, s96, s69
	s_addc_u32 s76, 0, s68
	s_mul_i32 s68, s0, 15
	s_add_u32 s0, s69, s98
	s_addc_u32 s0, s76, s99
	s_addc_u32 s66, s66, 0
	s_add_u32 s0, s0, s67
	s_addc_u32 s66, 0, s66
	s_mul_i32 s69, s0, 15
	s_mul_hi_u32 s67, s0, 15
	s_mul_i32 s66, s66, 15
	v_sub_co_u32 v36, s69, s22, s69
	s_add_i32 s67, s67, s66
	s_cmp_lg_u32 s69, 0
	s_mul_i32 s71, s94, 15
	s_subb_u32 s66, s23, s67
	v_sub_co_u32 v37, s67, v36, 15
	s_delay_alu instid0(VALU_DEP_1) | instskip(SKIP_2) | instid1(VALU_DEP_2)
	s_cmp_lg_u32 s67, 0
	v_readfirstlane_b32 s69, v36
	s_subb_u32 s67, s66, 0
	v_readfirstlane_b32 s76, v37
	s_delay_alu instid0(VALU_DEP_1)
	s_cmp_gt_u32 s76, 14
	s_cselect_b32 s76, -1, 0
	s_cmp_eq_u32 s67, 0
	s_cselect_b32 s67, s76, -1
	s_add_i32 s76, s0, 1
	s_add_i32 s82, s0, 2
	s_cmp_lg_u32 s67, 0
	s_cselect_b32 s67, s82, s76
	s_cmp_gt_u32 s69, 14
	s_cselect_b32 s69, -1, 0
	s_cmp_eq_u32 s66, 0
	s_cselect_b32 s66, s69, -1
	s_delay_alu instid0(SALU_CYCLE_1)
	s_cmp_lg_u32 s66, 0
	s_cselect_b32 s0, s67, s0
	s_add_u32 s64, s88, s64
	s_addc_u32 s66, 0, s63
	s_mul_i32 s63, s0, 15
	s_add_u32 s0, s64, s91
	s_addc_u32 s0, s66, s103
	s_addc_u32 s61, s61, 0
	s_add_u32 s0, s0, s62
	s_addc_u32 s61, 0, s61
	s_mul_i32 s64, s0, 15
	s_mul_hi_u32 s62, s0, 15
	s_mul_i32 s61, s61, 15
	v_sub_co_u32 v36, s64, s24, s64
	s_add_i32 s62, s62, s61
	s_cmp_lg_u32 s64, 0
	s_subb_u32 s61, s25, s62
	s_delay_alu instid0(VALU_DEP_1) | instskip(NEXT) | instid1(VALU_DEP_1)
	v_sub_co_u32 v37, s62, v36, 15
	s_cmp_lg_u32 s62, 0
	v_readfirstlane_b32 s64, v36
	s_subb_u32 s62, s61, 0
	s_delay_alu instid0(VALU_DEP_2) | instskip(NEXT) | instid1(VALU_DEP_1)
	v_readfirstlane_b32 s66, v37
	s_cmp_gt_u32 s66, 14
	s_cselect_b32 s66, -1, 0
	s_cmp_eq_u32 s62, 0
	s_cselect_b32 s62, s66, -1
	s_add_i32 s66, s0, 1
	s_add_i32 s67, s0, 2
	s_cmp_lg_u32 s62, 0
	s_cselect_b32 s62, s67, s66
	s_cmp_gt_u32 s64, 14
	s_cselect_b32 s64, -1, 0
	s_cmp_eq_u32 s61, 0
	s_cselect_b32 s61, s64, -1
	s_delay_alu instid0(SALU_CYCLE_1)
	s_cmp_lg_u32 s61, 0
	s_cselect_b32 s0, s62, s0
	s_add_u32 s60, s100, s60
	s_addc_u32 s61, 0, s59
	s_mul_i32 s59, s0, 15
	s_add_u32 s0, s60, vcc_lo
	s_addc_u32 s0, s61, s104
	s_addc_u32 s57, s57, 0
	s_add_u32 s0, s0, s58
	s_addc_u32 s57, 0, s57
	s_mul_i32 s60, s0, 15
	s_mul_hi_u32 s58, s0, 15
	s_mul_i32 s57, s57, 15
	v_sub_co_u32 v36, s60, s26, s60
	s_add_i32 s58, s58, s57
	s_cmp_lg_u32 s60, 0
	s_subb_u32 s57, s27, s58
	s_delay_alu instid0(VALU_DEP_1) | instskip(NEXT) | instid1(VALU_DEP_1)
	v_sub_co_u32 v37, s58, v36, 15
	s_cmp_lg_u32 s58, 0
	v_readfirstlane_b32 s60, v36
	s_subb_u32 s58, s57, 0
	s_delay_alu instid0(VALU_DEP_2) | instskip(NEXT) | instid1(VALU_DEP_1)
	v_readfirstlane_b32 s61, v37
	s_cmp_gt_u32 s61, 14
	s_cselect_b32 s61, -1, 0
	s_cmp_eq_u32 s58, 0
	s_cselect_b32 s58, s61, -1
	s_add_i32 s61, s0, 1
	s_add_i32 s62, s0, 2
	s_cmp_lg_u32 s58, 0
	s_cselect_b32 s58, s62, s61
	s_cmp_gt_u32 s60, 14
	s_cselect_b32 s60, -1, 0
	s_cmp_eq_u32 s57, 0
	s_cselect_b32 s57, s60, -1
	s_delay_alu instid0(SALU_CYCLE_1)
	s_cmp_lg_u32 s57, 0
	s_cselect_b32 s0, s58, s0
	s_add_u32 s56, vcc_hi, s56
	s_addc_u32 s55, 0, s55
	s_add_u32 s56, s56, s89
	s_addc_u32 s1, s55, s1
	s_addc_u32 s53, s53, 0
	s_add_u32 s1, s1, s54
	s_addc_u32 s53, 0, s53
	s_mul_i32 s55, s1, 15
	s_mul_hi_u32 s54, s1, 15
	s_mul_i32 s53, s53, 15
	v_sub_co_u32 v36, s55, s28, s55
	s_add_i32 s54, s54, s53
	s_cmp_lg_u32 s55, 0
	s_mul_i32 s0, s0, 15
	s_subb_u32 s53, s29, s54
	v_sub_co_u32 v37, s54, v36, 15
	s_delay_alu instid0(VALU_DEP_1) | instskip(SKIP_2) | instid1(VALU_DEP_2)
	s_cmp_lg_u32 s54, 0
	v_readfirstlane_b32 s55, v36
	s_subb_u32 s54, s53, 0
	v_readfirstlane_b32 s56, v37
	s_delay_alu instid0(VALU_DEP_1)
	s_cmp_gt_u32 s56, 14
	s_cselect_b32 s56, -1, 0
	s_cmp_eq_u32 s54, 0
	s_cselect_b32 s54, s56, -1
	s_add_i32 s56, s1, 1
	s_add_i32 s57, s1, 2
	s_cmp_lg_u32 s54, 0
	s_cselect_b32 s54, s57, s56
	s_cmp_gt_u32 s55, 14
	s_cselect_b32 s55, -1, 0
	s_cmp_eq_u32 s53, 0
	s_cselect_b32 s53, s55, -1
	s_delay_alu instid0(SALU_CYCLE_1)
	s_cmp_lg_u32 s53, 0
	s_cselect_b32 s1, s54, s1
	s_add_u32 s52, s87, s52
	s_addc_u32 s51, 0, s51
	s_add_u32 s52, s52, s93
	s_addc_u32 s51, s51, s92
	s_addc_u32 s49, s49, 0
	s_add_u32 s50, s51, s50
	s_addc_u32 s49, 0, s49
	s_mul_i32 s52, s50, 15
	s_mul_hi_u32 s51, s50, 15
	s_mul_i32 s49, s49, 15
	v_sub_co_u32 v36, s52, s30, s52
	s_add_i32 s51, s51, s49
	s_cmp_lg_u32 s52, 0
	s_mul_i32 s1, s1, 15
	s_subb_u32 s49, s31, s51
	v_sub_co_u32 v37, s51, v36, 15
	s_delay_alu instid0(VALU_DEP_1) | instskip(SKIP_2) | instid1(VALU_DEP_2)
	s_cmp_lg_u32 s51, 0
	v_readfirstlane_b32 s52, v36
	s_subb_u32 s51, s49, 0
	v_readfirstlane_b32 s53, v37
	s_delay_alu instid0(VALU_DEP_1)
	s_cmp_gt_u32 s53, 14
	s_cselect_b32 s53, -1, 0
	s_cmp_eq_u32 s51, 0
	s_cselect_b32 s51, s53, -1
	s_add_i32 s53, s50, 1
	s_add_i32 s54, s50, 2
	s_cmp_lg_u32 s51, 0
	s_cselect_b32 s51, s54, s53
	s_cmp_gt_u32 s52, 14
	s_cselect_b32 s52, -1, 0
	s_cmp_eq_u32 s49, 0
	s_cselect_b32 s49, s52, -1
	s_delay_alu instid0(SALU_CYCLE_1)
	s_cmp_lg_u32 s49, 0
	s_cselect_b32 s49, s51, s50
	s_add_u32 s48, s85, s48
	;; [unrolled: 37-line block ×4, first 2 shown]
	s_addc_u32 s33, 0, s33
	s_add_u32 s39, s39, s79
	s_addc_u32 s33, s33, s77
	s_addc_u32 s39, s42, 0
	s_add_u32 s33, s33, s43
	s_addc_u32 s39, 0, s39
	s_mul_i32 s41, s33, 15
	s_mul_hi_u32 s40, s33, 15
	s_mul_i32 s39, s39, 15
	v_sub_co_u32 v36, s41, s6, s41
	s_add_i32 s40, s40, s39
	s_cmp_lg_u32 s41, 0
	s_mul_i32 s38, s38, 15
	s_subb_u32 s39, s7, s40
	v_sub_co_u32 v37, s40, v36, 15
	s_delay_alu instid0(VALU_DEP_1) | instskip(SKIP_2) | instid1(VALU_DEP_2)
	s_cmp_lg_u32 s40, 0
	v_readfirstlane_b32 s41, v36
	s_subb_u32 s40, s39, 0
	v_readfirstlane_b32 s42, v37
	s_delay_alu instid0(VALU_DEP_1)
	s_cmp_gt_u32 s42, 14
	s_cselect_b32 s42, -1, 0
	s_cmp_eq_u32 s40, 0
	s_cselect_b32 s40, s42, -1
	s_add_i32 s42, s33, 1
	s_add_i32 s43, s33, 2
	s_cmp_lg_u32 s40, 0
	s_cselect_b32 s40, s43, s42
	s_cmp_gt_u32 s41, 14
	s_cselect_b32 s41, -1, 0
	s_cmp_eq_u32 s39, 0
	s_cselect_b32 s39, s41, -1
	s_delay_alu instid0(SALU_CYCLE_1)
	s_cmp_lg_u32 s39, 0
	s_cselect_b32 s33, s40, s33
	s_sub_i32 s39, s6, s75
	s_mul_i32 s33, s33, -15
	s_add_i32 s39, s39, 1
	s_add_i32 s33, s6, s33
	s_add_u32 s4, s4, 1
	s_mov_b32 m0, s33
	s_addc_u32 s5, s5, 0
	s_waitcnt vmcnt(0)
	v_movreld_b32_e32 v0, v15
	s_mov_b32 m0, s39
	s_sub_i32 s38, s6, s38
	v_movrels_b32_e32 v36, v0
	s_add_i32 s38, s38, 2
	s_sub_i32 s40, s6, s45
	s_mov_b32 m0, s38
	s_add_i32 s40, s40, 3
	v_movrels_b32_e32 v37, v0
	v_fma_f32 v36, v16, v36, 0
	s_mov_b32 m0, s40
	s_sub_i32 s41, s6, s49
	v_movrels_b32_e32 v38, v0
	s_add_i32 s41, s41, 4
	v_fmac_f32_e32 v36, v17, v37
	s_mov_b32 m0, s41
	s_sub_i32 s1, s6, s1
	v_movrels_b32_e32 v39, v0
	s_add_i32 s1, s1, 5
	v_fmac_f32_e32 v36, v18, v38
	;; [unrolled: 5-line block ×12, first 2 shown]
	s_mov_b32 m0, s50
	s_add_u32 s6, s6, 1
	v_movrels_b32_e32 v15, v0
	s_addc_u32 s7, s7, 0
	v_fmac_f32_e32 v36, v29, v40
	s_add_u32 s8, s8, 1
	s_addc_u32 s9, s9, 0
	s_add_u32 s10, s10, 1
	s_addc_u32 s11, s11, 0
	v_fmac_f32_e32 v36, v30, v15
	s_add_u32 s12, s12, 1
	s_addc_u32 s13, s13, 0
	s_add_u32 s14, s14, 1
	s_addc_u32 s15, s15, 0
	v_add_f32_e32 v15, v35, v36
	s_add_u32 s16, s16, 1
	s_addc_u32 s17, s17, 0
	s_add_u32 s18, s18, 1
	s_addc_u32 s19, s19, 0
	v_mul_f32_e32 v36, 0xbfb8aa3b, v15
	s_add_u32 s20, s20, 1
	s_addc_u32 s21, s21, 0
	s_add_u32 s22, s22, 1
	s_addc_u32 s23, s23, 0
	v_fma_f32 v37, 0xbfb8aa3b, v15, -v36
	v_rndne_f32_e32 v38, v36
	s_add_u32 s24, s24, 1
	s_addc_u32 s25, s25, 0
	s_add_u32 s26, s26, 1
	s_addc_u32 s27, s27, 0
	v_dual_sub_f32 v36, v36, v38 :: v_dual_fmac_f32 v37, 0xb2a5705f, v15
	v_cmp_nlt_f32_e32 vcc_lo, 0x42ce8ed0, v15
	s_add_u32 s28, s28, 1
	s_addc_u32 s29, s29, 0
	s_add_u32 s30, s30, 1
	v_add_f32_e32 v36, v36, v37
	v_cvt_i32_f32_e32 v37, v38
	v_readlane_b32 s0, v46, 0
	s_addc_u32 s31, s31, 0
	v_readlane_b32 s1, v46, 1
	v_exp_f32_e32 v36, v36
	s_add_u32 s34, s34, 1
	s_addc_u32 s35, s35, 0
	s_add_u32 s36, s36, 1
	s_addc_u32 s37, s37, 0
	s_cmp_eq_u64 s[0:1], s[6:7]
	s_waitcnt_depctr 0xfff
	v_ldexp_f32 v36, v36, v37
	s_delay_alu instid0(VALU_DEP_1) | instskip(SKIP_1) | instid1(VALU_DEP_2)
	v_cndmask_b32_e32 v36, 0, v36, vcc_lo
	v_cmp_ngt_f32_e32 vcc_lo, 0xc2b17218, v15
	v_cndmask_b32_e32 v36, 0x7f800000, v36, vcc_lo
	s_delay_alu instid0(VALU_DEP_1) | instskip(NEXT) | instid1(VALU_DEP_1)
	v_add_f32_e32 v36, 1.0, v36
	v_div_scale_f32 v37, null, v36, v36, v15
	v_div_scale_f32 v39, vcc_lo, v15, v36, v15
	s_delay_alu instid0(VALU_DEP_2) | instskip(SKIP_2) | instid1(VALU_DEP_1)
	v_rcp_f32_e32 v38, v37
	s_waitcnt_depctr 0xfff
	v_fma_f32 v40, -v37, v38, 1.0
	v_fmac_f32_e32 v38, v40, v38
	s_delay_alu instid0(VALU_DEP_1) | instskip(NEXT) | instid1(VALU_DEP_1)
	v_mul_f32_e32 v40, v39, v38
	v_fma_f32 v41, -v37, v40, v39
	s_delay_alu instid0(VALU_DEP_1) | instskip(NEXT) | instid1(VALU_DEP_1)
	v_fmac_f32_e32 v40, v41, v38
	v_fma_f32 v37, -v37, v40, v39
	s_delay_alu instid0(VALU_DEP_1) | instskip(NEXT) | instid1(VALU_DEP_1)
	v_div_fmas_f32 v37, v37, v38, v40
	v_div_fixup_f32 v15, v37, v36, v15
	global_store_b32 v[33:34], v15, off
	v_add_co_u32 v33, vcc_lo, v33, s2
	v_add_co_ci_u32_e32 v34, vcc_lo, s3, v34, vcc_lo
	s_cbranch_scc0 .LBB8_5
.LBB8_6:
	s_nop 0
	s_sendmsg sendmsg(MSG_DEALLOC_VGPRS)
	s_endpgm
	.section	.rodata,"a",@progbits
	.p2align	6, 0x0
	.amdhsa_kernel _ZL12ssm_conv_f32ILb1ELm128ELm15EEvPKfS1_S1_iiiiPfiiil
		.amdhsa_group_segment_fixed_size 0
		.amdhsa_private_segment_fixed_size 0
		.amdhsa_kernarg_size 72
		.amdhsa_user_sgpr_count 14
		.amdhsa_user_sgpr_dispatch_ptr 0
		.amdhsa_user_sgpr_queue_ptr 0
		.amdhsa_user_sgpr_kernarg_segment_ptr 1
		.amdhsa_user_sgpr_dispatch_id 0
		.amdhsa_user_sgpr_private_segment_size 0
		.amdhsa_wavefront_size32 1
		.amdhsa_uses_dynamic_stack 0
		.amdhsa_enable_private_segment 0
		.amdhsa_system_sgpr_workgroup_id_x 1
		.amdhsa_system_sgpr_workgroup_id_y 1
		.amdhsa_system_sgpr_workgroup_id_z 0
		.amdhsa_system_sgpr_workgroup_info 0
		.amdhsa_system_vgpr_workitem_id 0
		.amdhsa_next_free_vgpr 47
		.amdhsa_next_free_sgpr 105
		.amdhsa_reserve_vcc 1
		.amdhsa_float_round_mode_32 0
		.amdhsa_float_round_mode_16_64 0
		.amdhsa_float_denorm_mode_32 3
		.amdhsa_float_denorm_mode_16_64 3
		.amdhsa_dx10_clamp 1
		.amdhsa_ieee_mode 1
		.amdhsa_fp16_overflow 0
		.amdhsa_workgroup_processor_mode 1
		.amdhsa_memory_ordered 1
		.amdhsa_forward_progress 0
		.amdhsa_shared_vgpr_count 0
		.amdhsa_exception_fp_ieee_invalid_op 0
		.amdhsa_exception_fp_denorm_src 0
		.amdhsa_exception_fp_ieee_div_zero 0
		.amdhsa_exception_fp_ieee_overflow 0
		.amdhsa_exception_fp_ieee_underflow 0
		.amdhsa_exception_fp_ieee_inexact 0
		.amdhsa_exception_int_div_zero 0
	.end_amdhsa_kernel
	.section	.text._ZL12ssm_conv_f32ILb1ELm128ELm15EEvPKfS1_S1_iiiiPfiiil,"axG",@progbits,_ZL12ssm_conv_f32ILb1ELm128ELm15EEvPKfS1_S1_iiiiPfiiil,comdat
.Lfunc_end8:
	.size	_ZL12ssm_conv_f32ILb1ELm128ELm15EEvPKfS1_S1_iiiiPfiiil, .Lfunc_end8-_ZL12ssm_conv_f32ILb1ELm128ELm15EEvPKfS1_S1_iiiiPfiiil
                                        ; -- End function
	.section	.AMDGPU.csdata,"",@progbits
; Kernel info:
; codeLenInByte = 4736
; NumSgprs: 107
; NumVgprs: 47
; ScratchSize: 0
; MemoryBound: 0
; FloatMode: 240
; IeeeMode: 1
; LDSByteSize: 0 bytes/workgroup (compile time only)
; SGPRBlocks: 13
; VGPRBlocks: 5
; NumSGPRsForWavesPerEU: 107
; NumVGPRsForWavesPerEU: 47
; Occupancy: 16
; WaveLimiterHint : 0
; COMPUTE_PGM_RSRC2:SCRATCH_EN: 0
; COMPUTE_PGM_RSRC2:USER_SGPR: 14
; COMPUTE_PGM_RSRC2:TRAP_HANDLER: 0
; COMPUTE_PGM_RSRC2:TGID_X_EN: 1
; COMPUTE_PGM_RSRC2:TGID_Y_EN: 1
; COMPUTE_PGM_RSRC2:TGID_Z_EN: 0
; COMPUTE_PGM_RSRC2:TIDIG_COMP_CNT: 0
	.section	.text._ZL23ssm_conv_long_token_f32ILb1ELm128ELm15ELl32EEvPKfS1_S1_iiiiPfiiil,"axG",@progbits,_ZL23ssm_conv_long_token_f32ILb1ELm128ELm15ELl32EEvPKfS1_S1_iiiiPfiiil,comdat
	.globl	_ZL23ssm_conv_long_token_f32ILb1ELm128ELm15ELl32EEvPKfS1_S1_iiiiPfiiil ; -- Begin function _ZL23ssm_conv_long_token_f32ILb1ELm128ELm15ELl32EEvPKfS1_S1_iiiiPfiiil
	.p2align	8
	.type	_ZL23ssm_conv_long_token_f32ILb1ELm128ELm15ELl32EEvPKfS1_S1_iiiiPfiiil,@function
_ZL23ssm_conv_long_token_f32ILb1ELm128ELm15ELl32EEvPKfS1_S1_iiiiPfiiil: ; @_ZL23ssm_conv_long_token_f32ILb1ELm128ELm15ELl32EEvPKfS1_S1_iiiiPfiiil
; %bb.0:
	v_mul_u32_u24_e32 v1, 0x591, v0
	s_clause 0x1
	s_load_b128 s[4:7], s[0:1], 0x18
	s_load_b64 s[8:9], s[0:1], 0x0
	s_mov_b32 s2, s15
	v_lshrrev_b32_e32 v1, 16, v1
	s_delay_alu instid0(VALU_DEP_1) | instskip(NEXT) | instid1(VALU_DEP_1)
	v_mul_lo_u16 v2, v1, 46
	v_sub_nc_u16 v2, v0, v2
	s_waitcnt lgkmcnt(0)
	s_mul_i32 s3, s13, s6
	s_delay_alu instid0(VALU_DEP_1)
	v_or_b32_e32 v3, 0xffffff80, v2
	v_and_b32_e32 v2, 0xffff, v2
	s_ashr_i32 s6, s3, 31
	s_add_u32 s8, s8, s3
	s_addc_u32 s9, s9, s6
	v_lshrrev_b16 v4, 1, v3
	s_ashr_i32 s15, s14, 31
	s_ashr_i32 s3, s2, 31
	;; [unrolled: 1-line block ×3, first 2 shown]
	v_alignbit_b32 v7, s15, s14, 25
	v_and_b32_e32 v4, 0x7f, v4
	v_alignbit_b32 v8, s3, s2, 27
	s_ashr_i32 s10, s5, 31
	s_ashr_i32 s11, s4, 31
	v_mul_lo_u32 v7, v7, s5
	v_mul_lo_u16 v4, 0xb3, v4
	v_mul_lo_u32 v8, v8, s4
	s_lshl_b64 s[16:17], s[14:15], 7
	s_lshl_b64 s[14:15], s[2:3], 5
	s_mul_i32 s2, s16, s10
	v_lshrrev_b16 v5, 12, v4
	s_mul_hi_u32 s3, s16, s5
	s_mul_i32 s11, s14, s11
	s_mul_hi_u32 s12, s14, s4
	s_add_i32 s3, s3, s2
	v_mul_lo_u16 v4, v5, 46
	v_and_b32_e32 v5, 0xffff, v5
	s_add_i32 s12, s12, s11
	v_add_nc_u32_e32 v26, s3, v7
	s_mul_i32 s10, s16, s5
	v_sub_nc_u16 v6, v3, v4
	v_add_nc_u32_e32 v27, v1, v5
	v_add_nc_u32_e32 v5, s12, v8
	s_mul_i32 s18, s14, s4
	s_mov_b32 s2, exec_lo
	v_or_b32_e32 v3, 0xffffff80, v6
	v_and_b32_e32 v6, 0xff, v6
	s_delay_alu instid0(VALU_DEP_2) | instskip(NEXT) | instid1(VALU_DEP_1)
	v_lshrrev_b16 v4, 1, v3
	v_and_b32_e32 v4, 0x7f, v4
	s_delay_alu instid0(VALU_DEP_1) | instskip(NEXT) | instid1(VALU_DEP_1)
	v_mul_lo_u16 v4, 0xb3, v4
	v_lshrrev_b16 v11, 12, v4
	s_delay_alu instid0(VALU_DEP_1) | instskip(NEXT) | instid1(VALU_DEP_1)
	v_mul_lo_u16 v4, v11, 46
	v_sub_nc_u16 v12, v3, v4
	s_delay_alu instid0(VALU_DEP_1) | instskip(NEXT) | instid1(VALU_DEP_1)
	v_or_b32_e32 v3, 0xffffff80, v12
	v_lshrrev_b16 v4, 1, v3
	s_delay_alu instid0(VALU_DEP_1) | instskip(NEXT) | instid1(VALU_DEP_1)
	v_and_b32_e32 v4, 0x7f, v4
	v_mul_lo_u16 v4, 0xb3, v4
	s_delay_alu instid0(VALU_DEP_1) | instskip(NEXT) | instid1(VALU_DEP_1)
	v_lshrrev_b16 v13, 12, v4
	v_mul_lo_u16 v4, v13, 46
	s_delay_alu instid0(VALU_DEP_1) | instskip(NEXT) | instid1(VALU_DEP_1)
	v_sub_nc_u16 v14, v3, v4
	v_or_b32_e32 v3, 0xffffff80, v14
	s_delay_alu instid0(VALU_DEP_1) | instskip(NEXT) | instid1(VALU_DEP_1)
	v_lshrrev_b16 v4, 1, v3
	v_and_b32_e32 v4, 0x7f, v4
	s_delay_alu instid0(VALU_DEP_1) | instskip(NEXT) | instid1(VALU_DEP_1)
	v_mul_lo_u16 v4, 0xb3, v4
	v_lshrrev_b16 v15, 12, v4
	s_delay_alu instid0(VALU_DEP_1) | instskip(NEXT) | instid1(VALU_DEP_1)
	v_mul_lo_u16 v4, v15, 46
	v_sub_nc_u16 v16, v3, v4
	s_delay_alu instid0(VALU_DEP_1) | instskip(NEXT) | instid1(VALU_DEP_1)
	v_or_b32_e32 v3, 0xffffff80, v16
	v_lshrrev_b16 v4, 1, v3
	s_delay_alu instid0(VALU_DEP_1) | instskip(NEXT) | instid1(VALU_DEP_1)
	v_and_b32_e32 v4, 0x7f, v4
	v_mul_lo_u16 v4, 0xb3, v4
	s_delay_alu instid0(VALU_DEP_1) | instskip(NEXT) | instid1(VALU_DEP_1)
	v_lshrrev_b16 v17, 12, v4
	v_mul_lo_u16 v4, v17, 46
	s_delay_alu instid0(VALU_DEP_1) | instskip(NEXT) | instid1(VALU_DEP_1)
	v_sub_nc_u16 v18, v3, v4
	v_or_b32_e32 v3, 0xffffff80, v18
	s_delay_alu instid0(VALU_DEP_1) | instskip(NEXT) | instid1(VALU_DEP_1)
	;; [unrolled: 21-line block ×3, first 2 shown]
	v_lshrrev_b16 v4, 1, v3
	v_and_b32_e32 v4, 0x7f, v4
	s_delay_alu instid0(VALU_DEP_1) | instskip(NEXT) | instid1(VALU_DEP_1)
	v_mul_lo_u16 v4, 0xb3, v4
	v_lshrrev_b16 v23, 12, v4
	s_delay_alu instid0(VALU_DEP_1) | instskip(NEXT) | instid1(VALU_DEP_1)
	v_mul_lo_u16 v4, v23, 46
	v_sub_nc_u16 v24, v3, v4
	v_mad_u64_u32 v[3:4], null, s6, v1, v[2:3]
	s_delay_alu instid0(VALU_DEP_2) | instskip(NEXT) | instid1(VALU_DEP_1)
	v_or_b32_e32 v25, 0xffffff80, v24
	v_lshrrev_b16 v9, 1, v25
	s_delay_alu instid0(VALU_DEP_1) | instskip(NEXT) | instid1(VALU_DEP_1)
	v_and_b32_e32 v4, 0x7f, v9
	v_mul_lo_u16 v9, 0xb3, v4
	v_ashrrev_i32_e32 v4, 31, v3
	s_delay_alu instid0(VALU_DEP_2) | instskip(NEXT) | instid1(VALU_DEP_2)
	v_lshrrev_b16 v28, 12, v9
	v_lshlrev_b64 v[7:8], 2, v[3:4]
	v_add_co_u32 v4, vcc_lo, s8, s10
	s_delay_alu instid0(VALU_DEP_3) | instskip(NEXT) | instid1(VALU_DEP_3)
	v_mul_lo_u16 v3, v28, 46
	v_mad_u64_u32 v[9:10], null, v27, s6, v[6:7]
	v_add_co_ci_u32_e32 v10, vcc_lo, s9, v26, vcc_lo
	s_delay_alu instid0(VALU_DEP_3) | instskip(SKIP_1) | instid1(VALU_DEP_3)
	v_sub_nc_u16 v25, v25, v3
	v_add_co_u32 v4, vcc_lo, v4, s18
	v_add_co_ci_u32_e32 v5, vcc_lo, v10, v5, vcc_lo
	s_delay_alu instid0(VALU_DEP_3) | instskip(SKIP_3) | instid1(VALU_DEP_4)
	v_or_b32_e32 v26, 0xffffff80, v25
	v_ashrrev_i32_e32 v10, 31, v9
	v_and_b32_e32 v3, 0xffff, v11
	v_add_co_u32 v7, vcc_lo, v4, v7
	v_lshrrev_b16 v11, 1, v26
	s_delay_alu instid0(VALU_DEP_4)
	v_lshlrev_b64 v[9:10], 2, v[9:10]
	v_add_co_ci_u32_e32 v8, vcc_lo, v5, v8, vcc_lo
	v_add_nc_u32_e32 v30, v27, v3
	v_and_b32_e32 v3, 0xff, v12
	v_and_b32_e32 v11, 0x7f, v11
	global_load_b32 v29, v[7:8], off
	v_add_co_u32 v7, vcc_lo, v4, v9
	v_add_co_ci_u32_e32 v8, vcc_lo, v5, v10, vcc_lo
	v_mad_u64_u32 v[9:10], null, v30, s6, v[3:4]
	v_mul_lo_u16 v10, 0xb3, v11
	global_load_b32 v31, v[7:8], off
	v_mad_u32_u24 v6, v27, 46, v6
	v_lshrrev_b16 v32, 12, v10
	v_ashrrev_i32_e32 v10, 31, v9
	s_delay_alu instid0(VALU_DEP_2) | instskip(NEXT) | instid1(VALU_DEP_2)
	v_mul_lo_u16 v11, v32, 46
	v_lshlrev_b64 v[7:8], 2, v[9:10]
	v_and_b32_e32 v32, 0xffff, v32
	s_delay_alu instid0(VALU_DEP_3) | instskip(SKIP_1) | instid1(VALU_DEP_4)
	v_sub_nc_u16 v33, v26, v11
	v_mad_u32_u24 v11, v1, 46, v2
	v_add_co_u32 v7, vcc_lo, v4, v7
	v_add_co_ci_u32_e32 v8, vcc_lo, v5, v8, vcc_lo
	s_delay_alu instid0(VALU_DEP_4) | instskip(NEXT) | instid1(VALU_DEP_4)
	v_or_b32_e32 v9, 0xffffff80, v33
	v_lshl_add_u32 v27, v11, 2, 0
	global_load_b32 v34, v[7:8], off
	v_lshrrev_b16 v7, 1, v9
	s_delay_alu instid0(VALU_DEP_1) | instskip(NEXT) | instid1(VALU_DEP_1)
	v_and_b32_e32 v7, 0x7f, v7
	v_mul_lo_u16 v7, 0xb3, v7
	s_delay_alu instid0(VALU_DEP_1) | instskip(NEXT) | instid1(VALU_DEP_1)
	v_lshrrev_b16 v35, 12, v7
	v_mul_lo_u16 v7, v35, 46
	s_delay_alu instid0(VALU_DEP_1) | instskip(NEXT) | instid1(VALU_DEP_1)
	v_sub_nc_u16 v36, v9, v7
	v_or_b32_e32 v7, 0xffffff80, v36
	s_delay_alu instid0(VALU_DEP_1) | instskip(NEXT) | instid1(VALU_DEP_1)
	v_lshrrev_b16 v8, 1, v7
	v_and_b32_e32 v8, 0x7f, v8
	s_delay_alu instid0(VALU_DEP_1) | instskip(NEXT) | instid1(VALU_DEP_1)
	v_mul_lo_u16 v8, 0xb3, v8
	v_lshrrev_b16 v37, 12, v8
	s_delay_alu instid0(VALU_DEP_1) | instskip(NEXT) | instid1(VALU_DEP_1)
	v_mul_lo_u16 v8, v37, 46
	v_sub_nc_u16 v38, v7, v8
	s_delay_alu instid0(VALU_DEP_1) | instskip(NEXT) | instid1(VALU_DEP_1)
	v_or_b32_e32 v7, 0xffffff80, v38
	v_lshrrev_b16 v8, 1, v7
	s_delay_alu instid0(VALU_DEP_1) | instskip(NEXT) | instid1(VALU_DEP_1)
	v_and_b32_e32 v8, 0x7f, v8
	v_mul_lo_u16 v8, 0xb3, v8
	s_delay_alu instid0(VALU_DEP_1) | instskip(NEXT) | instid1(VALU_DEP_1)
	v_lshrrev_b16 v39, 12, v8
	v_mul_lo_u16 v8, v39, 46
	s_delay_alu instid0(VALU_DEP_1) | instskip(NEXT) | instid1(VALU_DEP_1)
	v_sub_nc_u16 v40, v7, v8
	v_or_b32_e32 v7, 0xffffff80, v40
	s_delay_alu instid0(VALU_DEP_1) | instskip(NEXT) | instid1(VALU_DEP_1)
	v_lshrrev_b16 v8, 1, v7
	v_and_b32_e32 v8, 0x7f, v8
	s_delay_alu instid0(VALU_DEP_1) | instskip(NEXT) | instid1(VALU_DEP_1)
	v_mul_lo_u16 v8, 0xb3, v8
	v_lshrrev_b16 v41, 12, v8
	s_delay_alu instid0(VALU_DEP_1) | instskip(NEXT) | instid1(VALU_DEP_1)
	v_mul_lo_u16 v8, v41, 46
	v_sub_nc_u16 v42, v7, v8
	s_delay_alu instid0(VALU_DEP_1) | instskip(NEXT) | instid1(VALU_DEP_1)
	v_or_b32_e32 v8, 0xffffff80, v42
	v_lshrrev_b16 v7, 1, v8
	s_delay_alu instid0(VALU_DEP_1) | instskip(NEXT) | instid1(VALU_DEP_1)
	v_and_b32_e32 v7, 0x7f, v7
	v_mul_lo_u16 v7, 0xb3, v7
	s_delay_alu instid0(VALU_DEP_1) | instskip(SKIP_1) | instid1(VALU_DEP_2)
	v_lshrrev_b16 v43, 12, v7
	v_and_b32_e32 v7, 0xffff, v13
	v_mul_lo_u16 v9, v43, 46
	s_delay_alu instid0(VALU_DEP_2) | instskip(SKIP_1) | instid1(VALU_DEP_3)
	v_add_nc_u32_e32 v10, v30, v7
	v_and_b32_e32 v7, 0xff, v14
	v_sub_nc_u16 v44, v8, v9
	s_delay_alu instid0(VALU_DEP_2) | instskip(SKIP_1) | instid1(VALU_DEP_3)
	v_mad_u64_u32 v[1:2], null, v10, s6, v[7:8]
	v_mad_u32_u24 v2, v30, 46, v3
	v_or_b32_e32 v14, 0xffffff80, v44
	v_and_b32_e32 v3, 0xffff, v15
	v_lshl_add_u32 v30, v6, 2, 0
	v_mad_u32_u24 v6, v10, 46, v7
	v_lshl_add_u32 v45, v2, 2, 0
	v_lshrrev_b16 v8, 1, v14
	v_add_nc_u32_e32 v11, v10, v3
	v_and_b32_e32 v3, 0xff, v16
	v_ashrrev_i32_e32 v2, 31, v1
	v_and_b32_e32 v10, 0xffff, v17
	v_and_b32_e32 v7, 0x7f, v8
	s_delay_alu instid0(VALU_DEP_4) | instskip(NEXT) | instid1(VALU_DEP_4)
	v_mad_u64_u32 v[8:9], null, v11, s6, v[3:4]
	v_lshlrev_b64 v[1:2], 2, v[1:2]
	s_delay_alu instid0(VALU_DEP_3) | instskip(SKIP_1) | instid1(VALU_DEP_2)
	v_mul_lo_u16 v7, 0xb3, v7
	v_add_nc_u32_e32 v10, v11, v10
	v_lshrrev_b16 v46, 12, v7
	v_mad_u32_u24 v7, v11, 46, v3
	v_ashrrev_i32_e32 v9, 31, v8
	v_add_co_u32 v12, vcc_lo, v4, v1
	s_delay_alu instid0(VALU_DEP_4) | instskip(SKIP_3) | instid1(VALU_DEP_4)
	v_mul_lo_u16 v11, v46, 46
	v_and_b32_e32 v1, 0xffff, v19
	v_add_co_ci_u32_e32 v13, vcc_lo, v5, v2, vcc_lo
	v_lshlrev_b64 v[2:3], 2, v[8:9]
	v_sub_nc_u16 v47, v14, v11
	s_delay_alu instid0(VALU_DEP_4)
	v_add_nc_u32_e32 v8, v10, v1
	v_and_b32_e32 v1, 0xff, v20
	v_and_b32_e32 v9, 0xff, v18
	;; [unrolled: 1-line block ×3, first 2 shown]
	v_or_b32_e32 v26, 0xffffff80, v47
	v_add_co_u32 v18, vcc_lo, v4, v2
	v_mad_u64_u32 v[16:17], null, v8, s6, v[1:2]
	v_add_co_ci_u32_e32 v19, vcc_lo, v5, v3, vcc_lo
	v_and_b32_e32 v2, 0xffff, v21
	v_lshrrev_b16 v3, 1, v26
	v_mad_u64_u32 v[14:15], null, v10, s6, v[9:10]
	v_mad_u32_u24 v9, v10, 46, v9
	s_delay_alu instid0(VALU_DEP_4)
	v_add_nc_u32_e32 v10, v8, v2
	v_and_b32_e32 v2, 0xff, v22
	v_and_b32_e32 v3, 0x7f, v3
	v_ashrrev_i32_e32 v17, 31, v16
	v_lshl_add_u32 v9, v9, 2, 0
	v_ashrrev_i32_e32 v15, 31, v14
	v_add_nc_u32_e32 v11, v10, v11
	v_mad_u64_u32 v[20:21], null, v10, s6, v[2:3]
	v_mul_lo_u16 v3, 0xb3, v3
	s_delay_alu instid0(VALU_DEP_4) | instskip(SKIP_1) | instid1(VALU_DEP_3)
	v_lshlrev_b64 v[14:15], 2, v[14:15]
	v_lshlrev_b64 v[16:17], 2, v[16:17]
	v_lshrrev_b16 v48, 12, v3
	v_and_b32_e32 v3, 0xff, v24
	v_and_b32_e32 v24, 0xffff, v28
	v_ashrrev_i32_e32 v21, 31, v20
	v_add_co_u32 v14, vcc_lo, v4, v14
	v_mul_lo_u16 v22, v48, 46
	s_delay_alu instid0(VALU_DEP_4)
	v_add_nc_u32_e32 v68, v11, v24
	v_and_b32_e32 v24, 0xff, v25
	v_lshlrev_b64 v[20:21], 2, v[20:21]
	v_add_co_ci_u32_e32 v15, vcc_lo, v5, v15, vcc_lo
	v_sub_nc_u16 v49, v26, v22
	v_add_co_u32 v16, vcc_lo, v4, v16
	v_mad_u64_u32 v[25:26], null, v68, s6, v[24:25]
	s_delay_alu instid0(VALU_DEP_3) | instskip(SKIP_2) | instid1(VALU_DEP_3)
	v_or_b32_e32 v28, 0xffffff80, v49
	v_add_co_ci_u32_e32 v17, vcc_lo, v5, v17, vcc_lo
	v_add_co_u32 v20, vcc_lo, v4, v20
	v_lshrrev_b16 v50, 1, v28
	v_add_co_ci_u32_e32 v21, vcc_lo, v5, v21, vcc_lo
	s_clause 0x4
	global_load_b32 v69, v[12:13], off
	global_load_b32 v70, v[18:19], off
	;; [unrolled: 1-line block ×5, first 2 shown]
	v_mad_u64_u32 v[22:23], null, v11, s6, v[3:4]
	v_and_b32_e32 v26, 0x7f, v50
	v_add_nc_u32_e32 v74, v68, v32
	v_and_b32_e32 v20, 0xffff, v35
	v_and_b32_e32 v14, 0xff, v33
	s_delay_alu instid0(VALU_DEP_4) | instskip(SKIP_3) | instid1(VALU_DEP_4)
	v_mul_lo_u16 v15, 0xb3, v26
	v_ashrrev_i32_e32 v23, 31, v22
	v_ashrrev_i32_e32 v26, 31, v25
	v_add_nc_u32_e32 v75, v74, v20
	v_lshrrev_b16 v50, 12, v15
	s_delay_alu instid0(VALU_DEP_4) | instskip(SKIP_2) | instid1(VALU_DEP_4)
	v_lshlrev_b64 v[12:13], 2, v[22:23]
	v_and_b32_e32 v23, 0xffff, v37
	v_lshlrev_b64 v[15:16], 2, v[25:26]
	v_mul_lo_u16 v19, v50, 46
	s_delay_alu instid0(VALU_DEP_3) | instskip(SKIP_1) | instid1(VALU_DEP_4)
	v_add_nc_u32_e32 v76, v75, v23
	v_and_b32_e32 v23, 0xffff, v39
	v_mad_u64_u32 v[17:18], null, v74, s6, v[14:15]
	s_delay_alu instid0(VALU_DEP_4) | instskip(SKIP_1) | instid1(VALU_DEP_4)
	v_sub_nc_u16 v51, v28, v19
	v_and_b32_e32 v19, 0xff, v36
	v_add_nc_u32_e32 v77, v76, v23
	v_add_co_u32 v12, vcc_lo, v4, v12
	s_delay_alu instid0(VALU_DEP_4) | instskip(NEXT) | instid1(VALU_DEP_4)
	v_or_b32_e32 v28, 0xffffff80, v51
	v_mad_u64_u32 v[20:21], null, v75, s6, v[19:20]
	s_waitcnt vmcnt(7)
	ds_store_b32 v27, v29
	v_and_b32_e32 v29, 0xffff, v41
	v_lshrrev_b16 v22, 1, v28
	v_and_b32_e32 v41, 0xffff, v50
	v_ashrrev_i32_e32 v18, 31, v17
	v_add_co_ci_u32_e32 v13, vcc_lo, v5, v13, vcc_lo
	s_delay_alu instid0(VALU_DEP_4)
	v_and_b32_e32 v22, 0x7f, v22
	v_add_nc_u32_e32 v78, v77, v29
	v_and_b32_e32 v29, 0xff, v42
	s_waitcnt vmcnt(6)
	ds_store_b32 v30, v31
	v_ashrrev_i32_e32 v21, 31, v20
	v_mul_lo_u16 v25, 0xb3, v22
	v_and_b32_e32 v22, 0xff, v38
	v_mad_u64_u32 v[30:31], null, v78, s6, v[29:30]
	v_and_b32_e32 v31, 0xffff, v43
	s_delay_alu instid0(VALU_DEP_4) | instskip(NEXT) | instid1(VALU_DEP_4)
	v_lshrrev_b16 v52, 12, v25
	v_mad_u64_u32 v[25:26], null, v76, s6, v[22:23]
	v_and_b32_e32 v23, 0xff, v40
	s_delay_alu instid0(VALU_DEP_4) | instskip(NEXT) | instid1(VALU_DEP_4)
	v_add_nc_u32_e32 v79, v78, v31
	v_mul_lo_u16 v26, v52, 46
	v_and_b32_e32 v43, 0xffff, v52
	v_lshlrev_b64 v[17:18], 2, v[17:18]
	v_add_co_u32 v15, vcc_lo, v4, v15
	s_delay_alu instid0(VALU_DEP_4)
	v_sub_nc_u16 v53, v28, v26
	v_mad_u64_u32 v[27:28], null, v77, s6, v[23:24]
	s_waitcnt vmcnt(5)
	ds_store_b32 v45, v34
	v_ashrrev_i32_e32 v26, 31, v25
	v_or_b32_e32 v38, 0xffffff80, v53
	v_lshlrev_b64 v[20:21], 2, v[20:21]
	v_add_co_ci_u32_e32 v16, vcc_lo, v5, v16, vcc_lo
	v_ashrrev_i32_e32 v28, 31, v27
	s_delay_alu instid0(VALU_DEP_4) | instskip(SKIP_3) | instid1(VALU_DEP_4)
	v_lshrrev_b16 v32, 1, v38
	v_add_co_u32 v17, vcc_lo, v4, v17
	v_lshlrev_b64 v[25:26], 2, v[25:26]
	v_ashrrev_i32_e32 v31, 31, v30
	v_and_b32_e32 v33, 0x7f, v32
	v_and_b32_e32 v32, 0xff, v44
	v_add_co_ci_u32_e32 v18, vcc_lo, v5, v18, vcc_lo
	v_add_co_u32 v20, vcc_lo, v4, v20
	s_delay_alu instid0(VALU_DEP_4) | instskip(NEXT) | instid1(VALU_DEP_4)
	v_mul_lo_u16 v35, 0xb3, v33
	v_mad_u64_u32 v[33:34], null, v79, s6, v[32:33]
	v_and_b32_e32 v34, 0xffff, v46
	v_lshlrev_b64 v[27:28], 2, v[27:28]
	s_delay_alu instid0(VALU_DEP_4) | instskip(SKIP_3) | instid1(VALU_DEP_4)
	v_lshrrev_b16 v54, 12, v35
	v_and_b32_e32 v35, 0xff, v47
	v_add_co_ci_u32_e32 v21, vcc_lo, v5, v21, vcc_lo
	v_add_nc_u32_e32 v80, v79, v34
	v_mul_lo_u16 v39, v54, 46
	v_ashrrev_i32_e32 v34, 31, v33
	v_add_co_u32 v25, vcc_lo, v4, v25
	s_delay_alu instid0(VALU_DEP_4)
	v_mad_u64_u32 v[36:37], null, v80, s6, v[35:36]
	v_and_b32_e32 v37, 0xffff, v48
	v_sub_nc_u16 v47, v38, v39
	v_and_b32_e32 v38, 0xff, v49
	v_lshlrev_b64 v[30:31], 2, v[30:31]
	v_add_co_ci_u32_e32 v26, vcc_lo, v5, v26, vcc_lo
	v_add_nc_u32_e32 v81, v80, v37
	v_or_b32_e32 v48, 0xffffff80, v47
	v_and_b32_e32 v47, 0xff, v47
	v_ashrrev_i32_e32 v37, 31, v36
	v_add_co_u32 v27, vcc_lo, v4, v27
	v_mad_u64_u32 v[39:40], null, v81, s6, v[38:39]
	v_lshrrev_b16 v40, 1, v48
	v_add_nc_u32_e32 v82, v81, v41
	v_lshlrev_b64 v[33:34], 2, v[33:34]
	v_add_co_ci_u32_e32 v28, vcc_lo, v5, v28, vcc_lo
	s_delay_alu instid0(VALU_DEP_4) | instskip(NEXT) | instid1(VALU_DEP_4)
	v_and_b32_e32 v42, 0x7f, v40
	v_add_nc_u32_e32 v83, v82, v43
	v_ashrrev_i32_e32 v40, 31, v39
	v_add_co_u32 v30, vcc_lo, v4, v30
	s_delay_alu instid0(VALU_DEP_4) | instskip(SKIP_3) | instid1(VALU_DEP_4)
	v_mul_lo_u16 v41, 0xb3, v42
	v_and_b32_e32 v42, 0xff, v53
	v_lshlrev_b64 v[36:37], 2, v[36:37]
	v_add_co_ci_u32_e32 v31, vcc_lo, v5, v31, vcc_lo
	v_lshrrev_b16 v49, 12, v41
	v_and_b32_e32 v41, 0xff, v51
	v_add_co_u32 v33, vcc_lo, v4, v33
	v_lshlrev_b64 v[39:40], 2, v[39:40]
	s_delay_alu instid0(VALU_DEP_4) | instskip(NEXT) | instid1(VALU_DEP_4)
	v_mul_lo_u16 v50, v49, 46
	v_mad_u64_u32 v[43:44], null, v82, s6, v[41:42]
	v_and_b32_e32 v51, 0xffff, v49
	v_add_co_ci_u32_e32 v34, vcc_lo, v5, v34, vcc_lo
	s_delay_alu instid0(VALU_DEP_4) | instskip(SKIP_2) | instid1(VALU_DEP_3)
	v_sub_nc_u16 v50, v48, v50
	v_add_co_u32 v36, vcc_lo, v4, v36
	v_mad_u64_u32 v[45:46], null, v83, s6, v[42:43]
	v_or_b32_e32 v53, 0xffffff80, v50
	v_and_b32_e32 v46, 0xffff, v54
	v_and_b32_e32 v50, 0xff, v50
	v_ashrrev_i32_e32 v44, 31, v43
	v_add_co_ci_u32_e32 v37, vcc_lo, v5, v37, vcc_lo
	v_lshrrev_b16 v52, 1, v53
	v_add_nc_u32_e32 v84, v83, v46
	v_ashrrev_i32_e32 v46, 31, v45
	v_lshlrev_b64 v[43:44], 2, v[43:44]
	v_add_co_u32 v39, vcc_lo, v4, v39
	v_and_b32_e32 v54, 0x7f, v52
	v_add_nc_u32_e32 v85, v84, v51
	v_mad_u64_u32 v[48:49], null, v84, s6, v[47:48]
	v_lshlrev_b64 v[45:46], 2, v[45:46]
	s_delay_alu instid0(VALU_DEP_4) | instskip(NEXT) | instid1(VALU_DEP_4)
	v_mul_lo_u16 v54, 0xb3, v54
	v_mad_u64_u32 v[51:52], null, v85, s6, v[50:51]
	v_add_co_ci_u32_e32 v40, vcc_lo, v5, v40, vcc_lo
	s_delay_alu instid0(VALU_DEP_3) | instskip(SKIP_3) | instid1(VALU_DEP_4)
	v_lshrrev_b16 v54, 12, v54
	v_ashrrev_i32_e32 v49, 31, v48
	v_add_co_u32 v43, vcc_lo, v4, v43
	v_ashrrev_i32_e32 v52, 31, v51
	v_mul_lo_u16 v55, v54, 46
	v_and_b32_e32 v54, 0xffff, v54
	v_lshlrev_b64 v[48:49], 2, v[48:49]
	v_add_co_ci_u32_e32 v44, vcc_lo, v5, v44, vcc_lo
	s_delay_alu instid0(VALU_DEP_4) | instskip(NEXT) | instid1(VALU_DEP_4)
	v_sub_nc_u16 v56, v53, v55
	v_add_nc_u32_e32 v86, v85, v54
	v_add_co_u32 v45, vcc_lo, v4, v45
	v_lshlrev_b64 v[51:52], 2, v[51:52]
	s_delay_alu instid0(VALU_DEP_4) | instskip(SKIP_3) | instid1(VALU_DEP_3)
	v_and_b32_e32 v53, 0xff, v56
	v_or_b32_e32 v56, 0xffffff80, v56
	v_add_co_ci_u32_e32 v46, vcc_lo, v5, v46, vcc_lo
	v_add_co_u32 v48, vcc_lo, v4, v48
	v_lshrrev_b16 v57, 1, v56
	v_mad_u64_u32 v[54:55], null, v86, s6, v[53:54]
	v_add_co_ci_u32_e32 v49, vcc_lo, v5, v49, vcc_lo
	s_delay_alu instid0(VALU_DEP_3) | instskip(SKIP_2) | instid1(VALU_DEP_3)
	v_and_b32_e32 v57, 0x7f, v57
	v_add_co_u32 v51, vcc_lo, v4, v51
	v_add_co_ci_u32_e32 v52, vcc_lo, v5, v52, vcc_lo
	v_mul_lo_u16 v57, 0xb3, v57
	v_ashrrev_i32_e32 v55, 31, v54
	s_delay_alu instid0(VALU_DEP_2) | instskip(NEXT) | instid1(VALU_DEP_2)
	v_lshrrev_b16 v57, 12, v57
	v_lshlrev_b64 v[54:55], 2, v[54:55]
	s_delay_alu instid0(VALU_DEP_2) | instskip(NEXT) | instid1(VALU_DEP_2)
	v_mul_lo_u16 v58, v57, 46
	v_add_co_u32 v54, vcc_lo, v4, v54
	s_delay_alu instid0(VALU_DEP_3) | instskip(NEXT) | instid1(VALU_DEP_3)
	v_add_co_ci_u32_e32 v55, vcc_lo, v5, v55, vcc_lo
	v_sub_nc_u16 v59, v56, v58
	v_and_b32_e32 v56, 0xffff, v57
	s_delay_alu instid0(VALU_DEP_1) | instskip(NEXT) | instid1(VALU_DEP_3)
	v_add_nc_u32_e32 v87, v86, v56
	v_and_b32_e32 v56, 0xff, v59
	v_or_b32_e32 v59, 0xffffff80, v59
	s_delay_alu instid0(VALU_DEP_2) | instskip(NEXT) | instid1(VALU_DEP_2)
	v_mad_u64_u32 v[57:58], null, v87, s6, v[56:57]
	v_lshrrev_b16 v60, 1, v59
	s_delay_alu instid0(VALU_DEP_1) | instskip(NEXT) | instid1(VALU_DEP_3)
	v_and_b32_e32 v60, 0x7f, v60
	v_ashrrev_i32_e32 v58, 31, v57
	s_delay_alu instid0(VALU_DEP_2) | instskip(NEXT) | instid1(VALU_DEP_2)
	v_mul_lo_u16 v60, 0xb3, v60
	v_lshlrev_b64 v[57:58], 2, v[57:58]
	s_delay_alu instid0(VALU_DEP_2) | instskip(NEXT) | instid1(VALU_DEP_2)
	v_lshrrev_b16 v60, 12, v60
	v_add_co_u32 v57, vcc_lo, v4, v57
	s_delay_alu instid0(VALU_DEP_3) | instskip(NEXT) | instid1(VALU_DEP_3)
	v_add_co_ci_u32_e32 v58, vcc_lo, v5, v58, vcc_lo
	v_mul_lo_u16 v61, v60, 46
	s_delay_alu instid0(VALU_DEP_1) | instskip(SKIP_1) | instid1(VALU_DEP_1)
	v_sub_nc_u16 v62, v59, v61
	v_and_b32_e32 v59, 0xffff, v60
	v_add_nc_u32_e32 v88, v87, v59
	s_delay_alu instid0(VALU_DEP_3) | instskip(SKIP_1) | instid1(VALU_DEP_2)
	v_and_b32_e32 v59, 0xff, v62
	v_or_b32_e32 v62, 0xffffff80, v62
	v_mad_u64_u32 v[60:61], null, v88, s6, v[59:60]
	s_delay_alu instid0(VALU_DEP_2) | instskip(NEXT) | instid1(VALU_DEP_1)
	v_lshrrev_b16 v63, 1, v62
	v_and_b32_e32 v63, 0x7f, v63
	s_delay_alu instid0(VALU_DEP_3) | instskip(NEXT) | instid1(VALU_DEP_2)
	v_ashrrev_i32_e32 v61, 31, v60
	v_mul_lo_u16 v63, 0xb3, v63
	s_delay_alu instid0(VALU_DEP_2) | instskip(NEXT) | instid1(VALU_DEP_2)
	v_lshlrev_b64 v[60:61], 2, v[60:61]
	v_lshrrev_b16 v63, 12, v63
	s_delay_alu instid0(VALU_DEP_2) | instskip(NEXT) | instid1(VALU_DEP_3)
	v_add_co_u32 v60, vcc_lo, v4, v60
	v_add_co_ci_u32_e32 v61, vcc_lo, v5, v61, vcc_lo
	s_delay_alu instid0(VALU_DEP_3) | instskip(NEXT) | instid1(VALU_DEP_1)
	v_mul_lo_u16 v64, v63, 46
	v_sub_nc_u16 v65, v62, v64
	v_and_b32_e32 v62, 0xffff, v63
	s_delay_alu instid0(VALU_DEP_1) | instskip(NEXT) | instid1(VALU_DEP_3)
	v_add_nc_u32_e32 v89, v88, v62
	v_and_b32_e32 v62, 0xff, v65
	v_or_b32_e32 v65, 0xffffff80, v65
	s_delay_alu instid0(VALU_DEP_2) | instskip(NEXT) | instid1(VALU_DEP_2)
	v_mad_u64_u32 v[63:64], null, v89, s6, v[62:63]
	v_lshrrev_b16 v66, 1, v65
	s_delay_alu instid0(VALU_DEP_1) | instskip(NEXT) | instid1(VALU_DEP_3)
	v_and_b32_e32 v66, 0x7f, v66
	v_ashrrev_i32_e32 v64, 31, v63
	s_delay_alu instid0(VALU_DEP_2) | instskip(NEXT) | instid1(VALU_DEP_2)
	v_mul_lo_u16 v66, 0xb3, v66
	v_lshlrev_b64 v[63:64], 2, v[63:64]
	s_delay_alu instid0(VALU_DEP_2) | instskip(NEXT) | instid1(VALU_DEP_2)
	v_lshrrev_b16 v66, 12, v66
	v_add_co_u32 v63, vcc_lo, v4, v63
	s_delay_alu instid0(VALU_DEP_3) | instskip(NEXT) | instid1(VALU_DEP_3)
	v_add_co_ci_u32_e32 v64, vcc_lo, v5, v64, vcc_lo
	v_mul_lo_u16 v67, v66, 46
	s_delay_alu instid0(VALU_DEP_1) | instskip(SKIP_1) | instid1(VALU_DEP_1)
	v_sub_nc_u16 v90, v65, v67
	v_and_b32_e32 v65, 0xffff, v66
	v_add_nc_u32_e32 v91, v89, v65
	s_delay_alu instid0(VALU_DEP_3) | instskip(NEXT) | instid1(VALU_DEP_1)
	v_and_b32_e32 v65, 0xff, v90
	v_mad_u64_u32 v[66:67], null, v91, s6, v[65:66]
	s_delay_alu instid0(VALU_DEP_1) | instskip(NEXT) | instid1(VALU_DEP_1)
	v_ashrrev_i32_e32 v67, 31, v66
	v_lshlrev_b64 v[66:67], 2, v[66:67]
	s_delay_alu instid0(VALU_DEP_1) | instskip(NEXT) | instid1(VALU_DEP_2)
	v_add_co_u32 v66, vcc_lo, v4, v66
	v_add_co_ci_u32_e32 v67, vcc_lo, v5, v67, vcc_lo
	s_clause 0x12
	global_load_b32 v92, v[12:13], off
	global_load_b32 v93, v[15:16], off
	;; [unrolled: 1-line block ×19, first 2 shown]
	v_mad_u64_u32 v[15:16], null, v10, 46, v[2:3]
	v_mad_u64_u32 v[12:13], null, v8, 46, v[1:2]
	;; [unrolled: 1-line block ×3, first 2 shown]
	v_lshl_add_u32 v8, v6, 2, 0
	v_lshl_add_u32 v10, v7, 2, 0
	v_mad_u64_u32 v[6:7], null, v74, 46, v[14:15]
	v_lshl_add_u32 v12, v12, 2, 0
	v_lshl_add_u32 v13, v15, 2, 0
	s_waitcnt vmcnt(23)
	ds_store_b32 v8, v69
	s_waitcnt vmcnt(22)
	ds_store_b32 v10, v70
	;; [unrolled: 2-line block ×5, first 2 shown]
	v_lshl_add_u32 v8, v1, 2, 0
	v_lshl_add_u32 v10, v6, 2, 0
	v_mad_u64_u32 v[6:7], null, v77, 46, v[23:24]
	s_delay_alu instid0(VALU_DEP_1)
	v_lshl_add_u32 v6, v6, 2, 0
	s_waitcnt vmcnt(18)
	ds_store_b32 v8, v92
	s_waitcnt vmcnt(12)
	v_mad_u64_u32 v[2:3], null, v68, 46, v[24:25]
	s_waitcnt vmcnt(8)
	v_mad_u64_u32 v[7:8], null, v78, 46, v[29:30]
	s_delay_alu instid0(VALU_DEP_2)
	v_lshl_add_u32 v9, v2, 2, 0
	v_mad_u64_u32 v[1:2], null, v75, 46, v[19:20]
	v_mad_u64_u32 v[2:3], null, v76, 46, v[22:23]
	ds_store_b32 v9, v93
	ds_store_b32 v10, v17
	v_lshl_add_u32 v7, v7, 2, 0
	v_or_b32_e32 v10, 0xffffff80, v90
	v_lshl_add_u32 v8, v1, 2, 0
	v_lshl_add_u32 v9, v2, 2, 0
	s_waitcnt vmcnt(6)
	v_mad_u64_u32 v[1:2], null, v79, 46, v[32:33]
	s_waitcnt vmcnt(4)
	v_mad_u64_u32 v[2:3], null, v80, 46, v[35:36]
	ds_store_b32 v8, v18
	ds_store_b32 v9, v20
	;; [unrolled: 1-line block ×4, first 2 shown]
	s_waitcnt vmcnt(2)
	v_mad_u64_u32 v[6:7], null, v81, 46, v[38:39]
	v_lshrrev_b16 v11, 1, v10
	v_lshl_add_u32 v8, v1, 2, 0
	v_lshl_add_u32 v7, v2, 2, 0
	v_mad_u64_u32 v[1:2], null, v82, 46, v[41:42]
	s_waitcnt vmcnt(0)
	v_mad_u64_u32 v[2:3], null, v83, 46, v[42:43]
	ds_store_b32 v8, v26
	ds_store_b32 v7, v27
	v_lshl_add_u32 v8, v6, 2, 0
	v_mad_u64_u32 v[6:7], null, v84, 46, v[47:48]
	v_lshl_add_u32 v7, v1, 2, 0
	ds_store_b32 v8, v28
	ds_store_b32 v7, v30
	v_lshl_add_u32 v9, v2, 2, 0
	v_mad_u64_u32 v[1:2], null, v85, 46, v[50:51]
	v_mad_u64_u32 v[2:3], null, v86, 46, v[53:54]
	v_lshl_add_u32 v3, v6, 2, 0
	v_and_b32_e32 v6, 0x7f, v11
	ds_store_b32 v9, v31
	ds_store_b32 v3, v33
	v_lshl_add_u32 v3, v1, 2, 0
	v_mul_lo_u16 v8, 0xb3, v6
	v_lshl_add_u32 v11, v2, 2, 0
	v_mad_u64_u32 v[1:2], null, v87, 46, v[56:57]
	v_mad_u64_u32 v[6:7], null, v88, 46, v[59:60]
	s_delay_alu instid0(VALU_DEP_4) | instskip(SKIP_2) | instid1(VALU_DEP_3)
	v_lshrrev_b16 v2, 12, v8
	v_mad_u64_u32 v[7:8], null, v89, 46, v[62:63]
	v_mad_u64_u32 v[8:9], null, v91, 46, v[65:66]
	v_mul_lo_u16 v9, v2, 46
	v_and_b32_e32 v2, 0xffff, v2
	ds_store_b32 v3, v34
	ds_store_b32 v11, v36
	v_lshl_add_u32 v3, v1, 2, 0
	v_lshl_add_u32 v6, v6, 2, 0
	v_sub_nc_u16 v1, v10, v9
	v_add_nc_u32_e32 v2, v91, v2
	v_lshl_add_u32 v7, v7, 2, 0
	v_lshl_add_u32 v8, v8, 2, 0
	ds_store_b32 v3, v37
	ds_store_b32 v6, v39
	;; [unrolled: 1-line block ×4, first 2 shown]
	v_and_b32_e32 v1, 0xff, v1
	v_cmpx_gt_u32_e32 0x80, v2
	s_cbranch_execz .LBB9_2
; %bb.1:
	s_delay_alu instid0(VALU_DEP_2) | instskip(NEXT) | instid1(VALU_DEP_1)
	v_mad_u64_u32 v[6:7], null, v2, s6, v[1:2]
	v_ashrrev_i32_e32 v7, 31, v6
	s_delay_alu instid0(VALU_DEP_1) | instskip(NEXT) | instid1(VALU_DEP_1)
	v_lshlrev_b64 v[6:7], 2, v[6:7]
	v_add_co_u32 v6, vcc_lo, v4, v6
	s_delay_alu instid0(VALU_DEP_2) | instskip(SKIP_2) | instid1(VALU_DEP_1)
	v_add_co_ci_u32_e32 v7, vcc_lo, v5, v7, vcc_lo
	global_load_b32 v3, v[6:7], off
	v_mad_u64_u32 v[6:7], null, v2, 46, v[1:2]
	v_lshl_add_u32 v6, v6, 2, 0
	s_waitcnt vmcnt(0)
	ds_store_b32 v6, v3
.LBB9_2:
	s_or_b32 exec_lo, exec_lo, s2
	s_delay_alu instid0(VALU_DEP_2) | instskip(SKIP_1) | instid1(VALU_DEP_1)
	v_or_b32_e32 v1, 0xffffff80, v1
	s_mov_b32 s2, exec_lo
	v_lshrrev_b16 v3, 1, v1
	s_delay_alu instid0(VALU_DEP_1) | instskip(NEXT) | instid1(VALU_DEP_1)
	v_and_b32_e32 v3, 0x7f, v3
	v_mul_lo_u16 v3, 0xb3, v3
	s_delay_alu instid0(VALU_DEP_1) | instskip(NEXT) | instid1(VALU_DEP_1)
	v_lshrrev_b16 v3, 12, v3
	v_mul_lo_u16 v6, v3, 46
	v_and_b32_e32 v3, 0xffff, v3
	s_delay_alu instid0(VALU_DEP_2) | instskip(NEXT) | instid1(VALU_DEP_2)
	v_sub_nc_u16 v1, v1, v6
	v_add_nc_u32_e32 v2, v2, v3
	s_delay_alu instid0(VALU_DEP_2) | instskip(NEXT) | instid1(VALU_DEP_2)
	v_and_b32_e32 v1, 0xff, v1
	v_cmpx_gt_u32_e32 0x80, v2
	s_cbranch_execz .LBB9_4
; %bb.3:
	s_delay_alu instid0(VALU_DEP_2) | instskip(NEXT) | instid1(VALU_DEP_1)
	v_mad_u64_u32 v[6:7], null, v2, s6, v[1:2]
	v_ashrrev_i32_e32 v7, 31, v6
	s_delay_alu instid0(VALU_DEP_1) | instskip(NEXT) | instid1(VALU_DEP_1)
	v_lshlrev_b64 v[6:7], 2, v[6:7]
	v_add_co_u32 v6, vcc_lo, v4, v6
	s_delay_alu instid0(VALU_DEP_2) | instskip(SKIP_2) | instid1(VALU_DEP_1)
	v_add_co_ci_u32_e32 v7, vcc_lo, v5, v7, vcc_lo
	global_load_b32 v3, v[6:7], off
	v_mad_u64_u32 v[6:7], null, v2, 46, v[1:2]
	v_lshl_add_u32 v6, v6, 2, 0
	s_waitcnt vmcnt(0)
	ds_store_b32 v6, v3
.LBB9_4:
	s_or_b32 exec_lo, exec_lo, s2
	s_delay_alu instid0(VALU_DEP_2) | instskip(SKIP_1) | instid1(VALU_DEP_1)
	v_or_b32_e32 v1, 0xffffff80, v1
	s_mov_b32 s2, exec_lo
	v_lshrrev_b16 v3, 1, v1
	s_delay_alu instid0(VALU_DEP_1) | instskip(NEXT) | instid1(VALU_DEP_1)
	v_and_b32_e32 v3, 0x7f, v3
	v_mul_lo_u16 v3, 0xb3, v3
	s_delay_alu instid0(VALU_DEP_1) | instskip(NEXT) | instid1(VALU_DEP_1)
	v_lshrrev_b16 v3, 12, v3
	v_mul_lo_u16 v6, v3, 46
	v_and_b32_e32 v3, 0xffff, v3
	s_delay_alu instid0(VALU_DEP_2) | instskip(NEXT) | instid1(VALU_DEP_2)
	v_sub_nc_u16 v1, v1, v6
	v_add_nc_u32_e32 v2, v2, v3
	s_delay_alu instid0(VALU_DEP_2) | instskip(NEXT) | instid1(VALU_DEP_2)
	;; [unrolled: 34-line block ×11, first 2 shown]
	v_and_b32_e32 v1, 0xff, v1
	v_cmpx_gt_u32_e32 0x80, v2
	s_cbranch_execz .LBB9_24
; %bb.23:
	s_delay_alu instid0(VALU_DEP_2) | instskip(NEXT) | instid1(VALU_DEP_1)
	v_mad_u64_u32 v[6:7], null, v2, s6, v[1:2]
	v_ashrrev_i32_e32 v7, 31, v6
	s_delay_alu instid0(VALU_DEP_1) | instskip(NEXT) | instid1(VALU_DEP_1)
	v_lshlrev_b64 v[6:7], 2, v[6:7]
	v_add_co_u32 v6, vcc_lo, v4, v6
	s_delay_alu instid0(VALU_DEP_2) | instskip(SKIP_2) | instid1(VALU_DEP_1)
	v_add_co_ci_u32_e32 v7, vcc_lo, v5, v7, vcc_lo
	global_load_b32 v3, v[6:7], off
	v_mad_u64_u32 v[6:7], null, v2, 46, v[1:2]
	v_lshl_add_u32 v6, v6, 2, 0
	s_waitcnt vmcnt(0)
	ds_store_b32 v6, v3
.LBB9_24:
	s_or_b32 exec_lo, exec_lo, s2
	s_clause 0x1
	s_load_b128 s[8:11], s[0:1], 0x8
	s_load_b64 s[4:5], s[0:1], 0x28
	s_mov_b32 s2, exec_lo
	v_cmpx_gt_u32_e32 0x380, v0
	s_cbranch_execz .LBB9_45
; %bb.25:
	v_or_b32_e32 v1, 0xffffff80, v1
	s_mov_b32 s3, exec_lo
	s_delay_alu instid0(VALU_DEP_1) | instskip(NEXT) | instid1(VALU_DEP_1)
	v_lshrrev_b16 v3, 1, v1
	v_and_b32_e32 v3, 0x7f, v3
	s_delay_alu instid0(VALU_DEP_1) | instskip(NEXT) | instid1(VALU_DEP_1)
	v_mul_lo_u16 v3, 0xb3, v3
	v_lshrrev_b16 v3, 12, v3
	s_delay_alu instid0(VALU_DEP_1) | instskip(SKIP_1) | instid1(VALU_DEP_2)
	v_mul_lo_u16 v6, v3, 46
	v_and_b32_e32 v3, 0xffff, v3
	v_sub_nc_u16 v1, v1, v6
	s_delay_alu instid0(VALU_DEP_2) | instskip(NEXT) | instid1(VALU_DEP_2)
	v_add_nc_u32_e32 v2, v2, v3
	v_and_b32_e32 v1, 0xff, v1
	s_delay_alu instid0(VALU_DEP_2)
	v_cmpx_gt_u32_e32 0x80, v2
	s_cbranch_execz .LBB9_27
; %bb.26:
	s_delay_alu instid0(VALU_DEP_2) | instskip(NEXT) | instid1(VALU_DEP_1)
	v_mad_u64_u32 v[6:7], null, v2, s6, v[1:2]
	v_ashrrev_i32_e32 v7, 31, v6
	s_delay_alu instid0(VALU_DEP_1) | instskip(NEXT) | instid1(VALU_DEP_1)
	v_lshlrev_b64 v[6:7], 2, v[6:7]
	v_add_co_u32 v6, vcc_lo, v4, v6
	s_delay_alu instid0(VALU_DEP_2) | instskip(SKIP_2) | instid1(VALU_DEP_1)
	v_add_co_ci_u32_e32 v7, vcc_lo, v5, v7, vcc_lo
	global_load_b32 v3, v[6:7], off
	v_mad_u64_u32 v[6:7], null, v2, 46, v[1:2]
	v_lshl_add_u32 v6, v6, 2, 0
	s_waitcnt vmcnt(0)
	ds_store_b32 v6, v3
.LBB9_27:
	s_or_b32 exec_lo, exec_lo, s3
	v_cmp_gt_u32_e32 vcc_lo, 0x300, v0
	s_and_b32 exec_lo, exec_lo, vcc_lo
	s_cbranch_execz .LBB9_45
; %bb.28:
	v_or_b32_e32 v1, 0xffffff80, v1
	s_mov_b32 s3, exec_lo
	s_delay_alu instid0(VALU_DEP_1) | instskip(NEXT) | instid1(VALU_DEP_1)
	v_lshrrev_b16 v3, 1, v1
	v_and_b32_e32 v3, 0x7f, v3
	s_delay_alu instid0(VALU_DEP_1) | instskip(NEXT) | instid1(VALU_DEP_1)
	v_mul_lo_u16 v3, 0xb3, v3
	v_lshrrev_b16 v3, 12, v3
	s_delay_alu instid0(VALU_DEP_1) | instskip(SKIP_1) | instid1(VALU_DEP_2)
	v_mul_lo_u16 v6, v3, 46
	v_and_b32_e32 v3, 0xffff, v3
	v_sub_nc_u16 v1, v1, v6
	s_delay_alu instid0(VALU_DEP_2) | instskip(NEXT) | instid1(VALU_DEP_2)
	v_add_nc_u32_e32 v2, v2, v3
	v_and_b32_e32 v1, 0xff, v1
	s_delay_alu instid0(VALU_DEP_2)
	v_cmpx_gt_u32_e32 0x80, v2
	s_cbranch_execz .LBB9_30
; %bb.29:
	s_delay_alu instid0(VALU_DEP_2) | instskip(NEXT) | instid1(VALU_DEP_1)
	v_mad_u64_u32 v[6:7], null, v2, s6, v[1:2]
	v_ashrrev_i32_e32 v7, 31, v6
	s_delay_alu instid0(VALU_DEP_1) | instskip(NEXT) | instid1(VALU_DEP_1)
	v_lshlrev_b64 v[6:7], 2, v[6:7]
	v_add_co_u32 v6, vcc_lo, v4, v6
	s_delay_alu instid0(VALU_DEP_2) | instskip(SKIP_2) | instid1(VALU_DEP_1)
	v_add_co_ci_u32_e32 v7, vcc_lo, v5, v7, vcc_lo
	global_load_b32 v3, v[6:7], off
	v_mad_u64_u32 v[6:7], null, v2, 46, v[1:2]
	v_lshl_add_u32 v6, v6, 2, 0
	s_waitcnt vmcnt(0)
	ds_store_b32 v6, v3
.LBB9_30:
	s_or_b32 exec_lo, exec_lo, s3
	v_cmp_gt_u32_e32 vcc_lo, 0x280, v0
	s_and_b32 exec_lo, exec_lo, vcc_lo
	;; [unrolled: 38-line block ×6, first 2 shown]
	s_cbranch_execz .LBB9_45
; %bb.43:
	v_or_b32_e32 v3, 0x80, v1
	s_delay_alu instid0(VALU_DEP_1) | instskip(NEXT) | instid1(VALU_DEP_1)
	v_lshrrev_b16 v1, 1, v3
	v_mul_lo_u16 v1, 0xb3, v1
	s_delay_alu instid0(VALU_DEP_1) | instskip(NEXT) | instid1(VALU_DEP_1)
	v_lshrrev_b16 v6, 12, v1
	v_and_b32_e32 v1, 0xffff, v6
	s_delay_alu instid0(VALU_DEP_1) | instskip(NEXT) | instid1(VALU_DEP_1)
	v_add_nc_u32_e32 v1, v2, v1
	v_cmp_gt_u32_e32 vcc_lo, 0x80, v1
	s_and_b32 exec_lo, exec_lo, vcc_lo
	s_cbranch_execz .LBB9_45
; %bb.44:
	v_mul_lo_u16 v2, v6, 46
	s_delay_alu instid0(VALU_DEP_1) | instskip(NEXT) | instid1(VALU_DEP_1)
	v_sub_nc_u16 v2, v3, v2
	v_and_b32_e32 v2, 0xff, v2
	s_delay_alu instid0(VALU_DEP_1) | instskip(NEXT) | instid1(VALU_DEP_1)
	v_mad_u64_u32 v[6:7], null, v1, s6, v[2:3]
	v_ashrrev_i32_e32 v7, 31, v6
	s_delay_alu instid0(VALU_DEP_1) | instskip(NEXT) | instid1(VALU_DEP_1)
	v_lshlrev_b64 v[6:7], 2, v[6:7]
	v_add_co_u32 v3, vcc_lo, v4, v6
	s_delay_alu instid0(VALU_DEP_2) | instskip(SKIP_2) | instid1(VALU_DEP_1)
	v_add_co_ci_u32_e32 v4, vcc_lo, v5, v7, vcc_lo
	global_load_b32 v5, v[3:4], off
	v_mad_u64_u32 v[3:4], null, v1, 46, v[2:3]
	v_lshl_add_u32 v1, v3, 2, 0
	s_waitcnt vmcnt(0)
	ds_store_b32 v1, v5
.LBB9_45:
	s_or_b32 exec_lo, exec_lo, s2
	s_ashr_i32 s2, s7, 31
	s_mul_hi_u32 s3, s16, s7
	s_mul_i32 s2, s16, s2
	s_mul_i32 s6, s17, s7
	s_add_i32 s2, s3, s2
	s_mul_i32 s3, s16, s7
	s_add_i32 s2, s2, s6
	s_waitcnt lgkmcnt(0)
	s_add_u32 s3, s8, s3
	s_addc_u32 s2, s9, s2
	s_ashr_i32 s6, s7, 2
	s_delay_alu instid0(SALU_CYCLE_1)
	v_mul_lo_u32 v1, s6, v0
	s_barrier
	buffer_gl0_inv
	v_lshlrev_b32_e32 v17, 2, v0
	s_cmp_eq_u64 s[10:11], 0
	v_ashrrev_i32_e32 v2, 31, v1
	s_delay_alu instid0(VALU_DEP_1) | instskip(NEXT) | instid1(VALU_DEP_1)
	v_lshlrev_b64 v[1:2], 2, v[1:2]
	v_add_co_u32 v9, vcc_lo, s3, v1
	s_delay_alu instid0(VALU_DEP_2)
	v_add_co_ci_u32_e32 v10, vcc_lo, s2, v2, vcc_lo
	s_clause 0x3
	global_load_b96 v[13:15], v[9:10], off offset:48
	global_load_b128 v[1:4], v[9:10], off offset:32
	global_load_b128 v[5:8], v[9:10], off offset:16
	global_load_b128 v[9:12], v[9:10], off
	s_cbranch_scc1 .LBB9_47
; %bb.46:
	s_lshl_b64 s[2:3], s[16:17], 2
	s_delay_alu instid0(SALU_CYCLE_1)
	s_add_u32 s2, s10, s2
	s_addc_u32 s3, s11, s3
	global_load_b32 v20, v17, s[2:3]
	s_branch .LBB9_48
.LBB9_47:
	v_mov_b32_e32 v20, 0
.LBB9_48:
	s_load_b64 s[2:3], s[0:1], 0x40
	s_waitcnt lgkmcnt(0)
	s_sub_u32 s6, s2, s14
	s_subb_u32 s7, s3, s15
	s_delay_alu instid0(SALU_CYCLE_1) | instskip(NEXT) | instid1(VALU_DEP_1)
	v_cmp_lt_i64_e64 s2, s[6:7], 1
	s_and_b32 vcc_lo, exec_lo, s2
	s_cbranch_vccnz .LBB9_51
; %bb.49:
	s_load_b128 s[0:3], s[0:1], 0x30
	v_mul_u32_u24_e32 v0, 46, v0
	s_waitcnt lgkmcnt(0)
	v_cmp_lt_i64_e64 s3, s[6:7], 32
	s_delay_alu instid0(VALU_DEP_2)
	v_lshl_add_u32 v0, v0, 2, 0
	ds_load_b32 v16, v0
	s_ashr_i32 s8, s1, 31
	s_ashr_i32 s11, s0, 31
	s_mul_hi_u32 s9, s14, s1
	s_mul_hi_u32 s12, s16, s0
	s_mul_i32 s8, s14, s8
	s_mul_i32 s11, s16, s11
	;; [unrolled: 1-line block ×5, first 2 shown]
	s_add_i32 s8, s9, s8
	s_add_i32 s9, s12, s11
	s_ashr_i32 s2, s1, 2
	s_ashr_i32 s17, s13, 31
	s_add_i32 s8, s8, s10
	s_add_i32 s9, s9, s15
	s_and_b32 s3, s3, exec_lo
	s_cselect_b32 s7, s7, 0
	s_cselect_b32 s6, s6, 32
	s_mul_i32 s11, s14, s1
	v_cmp_gt_i64_e64 s10, s[6:7], 1
	s_mul_i32 s12, s16, s0
	s_ashr_i32 s3, s2, 31
	s_delay_alu instid0(VALU_DEP_1)
	s_and_b32 s0, s10, exec_lo
	s_cselect_b32 s1, s7, 0
	s_cselect_b32 s0, s6, 1
	s_add_u32 s6, s12, s11
	s_addc_u32 s7, s9, s8
	s_add_u32 s4, s4, s13
	s_addc_u32 s5, s5, s17
	;; [unrolled: 2-line block ×3, first 2 shown]
	v_add_co_u32 v18, s4, s4, v17
	s_delay_alu instid0(VALU_DEP_1)
	v_add_co_ci_u32_e64 v19, null, s5, 0, s4
	s_lshl_b64 s[2:3], s[2:3], 2
.LBB9_50:                               ; =>This Inner Loop Header: Depth=1
	s_waitcnt vmcnt(0) lgkmcnt(0)
	v_fma_f32 v33, v9, v16, 0
	ds_load_2addr_b32 v[16:17], v0 offset0:1 offset1:2
	ds_load_2addr_b32 v[21:22], v0 offset0:3 offset1:4
	ds_load_2addr_b32 v[23:24], v0 offset0:5 offset1:6
	ds_load_2addr_b32 v[25:26], v0 offset0:7 offset1:8
	ds_load_2addr_b32 v[27:28], v0 offset0:9 offset1:10
	ds_load_2addr_b32 v[29:30], v0 offset0:11 offset1:12
	ds_load_2addr_b32 v[31:32], v0 offset0:13 offset1:14
	s_add_u32 s0, s0, -1
	s_addc_u32 s1, s1, -1
	s_delay_alu instid0(SALU_CYCLE_1) | instskip(SKIP_2) | instid1(VALU_DEP_1)
	s_cmp_lg_u64 s[0:1], 0
	s_waitcnt lgkmcnt(6)
	v_fmac_f32_e32 v33, v10, v16
	v_dual_fmac_f32 v33, v11, v17 :: v_dual_add_nc_u32 v34, 4, v0
	s_waitcnt lgkmcnt(5)
	s_delay_alu instid0(VALU_DEP_1) | instskip(NEXT) | instid1(VALU_DEP_1)
	v_fmac_f32_e32 v33, v12, v21
	v_fmac_f32_e32 v33, v5, v22
	s_waitcnt lgkmcnt(4)
	s_delay_alu instid0(VALU_DEP_1) | instskip(NEXT) | instid1(VALU_DEP_1)
	v_fmac_f32_e32 v33, v6, v23
	v_fmac_f32_e32 v33, v7, v24
	;; [unrolled: 4-line block ×6, first 2 shown]
	s_delay_alu instid0(VALU_DEP_1) | instskip(NEXT) | instid1(VALU_DEP_1)
	v_add_f32_e32 v17, v20, v33
	v_mul_f32_e32 v0, 0xbfb8aa3b, v17
	v_cmp_nlt_f32_e32 vcc_lo, 0x42ce8ed0, v17
	s_delay_alu instid0(VALU_DEP_2) | instskip(SKIP_1) | instid1(VALU_DEP_1)
	v_fma_f32 v21, 0xbfb8aa3b, v17, -v0
	v_rndne_f32_e32 v22, v0
	v_dual_fmac_f32 v21, 0xb2a5705f, v17 :: v_dual_sub_f32 v0, v0, v22
	s_delay_alu instid0(VALU_DEP_1) | instskip(SKIP_1) | instid1(VALU_DEP_2)
	v_add_f32_e32 v0, v0, v21
	v_cvt_i32_f32_e32 v21, v22
	v_exp_f32_e32 v0, v0
	s_waitcnt_depctr 0xfff
	v_ldexp_f32 v0, v0, v21
	s_delay_alu instid0(VALU_DEP_1) | instskip(SKIP_1) | instid1(VALU_DEP_2)
	v_cndmask_b32_e32 v0, 0, v0, vcc_lo
	v_cmp_ngt_f32_e32 vcc_lo, 0xc2b17218, v17
	v_cndmask_b32_e32 v0, 0x7f800000, v0, vcc_lo
	s_delay_alu instid0(VALU_DEP_1) | instskip(NEXT) | instid1(VALU_DEP_1)
	v_dual_add_f32 v21, 1.0, v0 :: v_dual_mov_b32 v0, v34
	v_div_scale_f32 v22, null, v21, v21, v17
	v_div_scale_f32 v24, vcc_lo, v17, v21, v17
	s_delay_alu instid0(VALU_DEP_2) | instskip(SKIP_2) | instid1(VALU_DEP_1)
	v_rcp_f32_e32 v23, v22
	s_waitcnt_depctr 0xfff
	v_fma_f32 v25, -v22, v23, 1.0
	v_fmac_f32_e32 v23, v25, v23
	s_delay_alu instid0(VALU_DEP_1) | instskip(NEXT) | instid1(VALU_DEP_1)
	v_mul_f32_e32 v25, v24, v23
	v_fma_f32 v26, -v22, v25, v24
	s_delay_alu instid0(VALU_DEP_1) | instskip(NEXT) | instid1(VALU_DEP_1)
	v_fmac_f32_e32 v25, v26, v23
	v_fma_f32 v22, -v22, v25, v24
	s_delay_alu instid0(VALU_DEP_1) | instskip(NEXT) | instid1(VALU_DEP_1)
	v_div_fmas_f32 v22, v22, v23, v25
	v_div_fixup_f32 v17, v22, v21, v17
	global_store_b32 v[18:19], v17, off
	v_add_co_u32 v18, vcc_lo, v18, s2
	v_add_co_ci_u32_e32 v19, vcc_lo, s3, v19, vcc_lo
	s_cbranch_scc1 .LBB9_50
.LBB9_51:
	s_nop 0
	s_sendmsg sendmsg(MSG_DEALLOC_VGPRS)
	s_endpgm
	.section	.rodata,"a",@progbits
	.p2align	6, 0x0
	.amdhsa_kernel _ZL23ssm_conv_long_token_f32ILb1ELm128ELm15ELl32EEvPKfS1_S1_iiiiPfiiil
		.amdhsa_group_segment_fixed_size 0
		.amdhsa_private_segment_fixed_size 0
		.amdhsa_kernarg_size 72
		.amdhsa_user_sgpr_count 13
		.amdhsa_user_sgpr_dispatch_ptr 0
		.amdhsa_user_sgpr_queue_ptr 0
		.amdhsa_user_sgpr_kernarg_segment_ptr 1
		.amdhsa_user_sgpr_dispatch_id 0
		.amdhsa_user_sgpr_private_segment_size 0
		.amdhsa_wavefront_size32 1
		.amdhsa_uses_dynamic_stack 0
		.amdhsa_enable_private_segment 0
		.amdhsa_system_sgpr_workgroup_id_x 1
		.amdhsa_system_sgpr_workgroup_id_y 1
		.amdhsa_system_sgpr_workgroup_id_z 1
		.amdhsa_system_sgpr_workgroup_info 0
		.amdhsa_system_vgpr_workitem_id 0
		.amdhsa_next_free_vgpr 94
		.amdhsa_next_free_sgpr 19
		.amdhsa_reserve_vcc 1
		.amdhsa_float_round_mode_32 0
		.amdhsa_float_round_mode_16_64 0
		.amdhsa_float_denorm_mode_32 3
		.amdhsa_float_denorm_mode_16_64 3
		.amdhsa_dx10_clamp 1
		.amdhsa_ieee_mode 1
		.amdhsa_fp16_overflow 0
		.amdhsa_workgroup_processor_mode 1
		.amdhsa_memory_ordered 1
		.amdhsa_forward_progress 0
		.amdhsa_shared_vgpr_count 0
		.amdhsa_exception_fp_ieee_invalid_op 0
		.amdhsa_exception_fp_denorm_src 0
		.amdhsa_exception_fp_ieee_div_zero 0
		.amdhsa_exception_fp_ieee_overflow 0
		.amdhsa_exception_fp_ieee_underflow 0
		.amdhsa_exception_fp_ieee_inexact 0
		.amdhsa_exception_int_div_zero 0
	.end_amdhsa_kernel
	.section	.text._ZL23ssm_conv_long_token_f32ILb1ELm128ELm15ELl32EEvPKfS1_S1_iiiiPfiiil,"axG",@progbits,_ZL23ssm_conv_long_token_f32ILb1ELm128ELm15ELl32EEvPKfS1_S1_iiiiPfiiil,comdat
.Lfunc_end9:
	.size	_ZL23ssm_conv_long_token_f32ILb1ELm128ELm15ELl32EEvPKfS1_S1_iiiiPfiiil, .Lfunc_end9-_ZL23ssm_conv_long_token_f32ILb1ELm128ELm15ELl32EEvPKfS1_S1_iiiiPfiiil
                                        ; -- End function
	.section	.AMDGPU.csdata,"",@progbits
; Kernel info:
; codeLenInByte = 9296
; NumSgprs: 21
; NumVgprs: 94
; ScratchSize: 0
; MemoryBound: 0
; FloatMode: 240
; IeeeMode: 1
; LDSByteSize: 0 bytes/workgroup (compile time only)
; SGPRBlocks: 2
; VGPRBlocks: 11
; NumSGPRsForWavesPerEU: 21
; NumVGPRsForWavesPerEU: 94
; Occupancy: 16
; WaveLimiterHint : 0
; COMPUTE_PGM_RSRC2:SCRATCH_EN: 0
; COMPUTE_PGM_RSRC2:USER_SGPR: 13
; COMPUTE_PGM_RSRC2:TRAP_HANDLER: 0
; COMPUTE_PGM_RSRC2:TGID_X_EN: 1
; COMPUTE_PGM_RSRC2:TGID_Y_EN: 1
; COMPUTE_PGM_RSRC2:TGID_Z_EN: 1
; COMPUTE_PGM_RSRC2:TIDIG_COMP_CNT: 0
	.section	.text._ZL12ssm_conv_f32ILb0ELm128ELm3EEvPKfS1_S1_iiiiPfiiil,"axG",@progbits,_ZL12ssm_conv_f32ILb0ELm128ELm3EEvPKfS1_S1_iiiiPfiiil,comdat
	.globl	_ZL12ssm_conv_f32ILb0ELm128ELm3EEvPKfS1_S1_iiiiPfiiil ; -- Begin function _ZL12ssm_conv_f32ILb0ELm128ELm3EEvPKfS1_S1_iiiiPfiiil
	.p2align	8
	.type	_ZL12ssm_conv_f32ILb0ELm128ELm3EEvPKfS1_S1_iiiiPfiiil,@function
_ZL12ssm_conv_f32ILb0ELm128ELm3EEvPKfS1_S1_iiiiPfiiil: ; @_ZL12ssm_conv_f32ILb0ELm128ELm3EEvPKfS1_S1_iiiiPfiiil
; %bb.0:
	s_load_b64 s[4:5], s[0:1], 0x10
	s_mov_b32 s2, s15
	s_ashr_i32 s3, s15, 31
	v_lshlrev_b32_e32 v8, 2, v0
	s_lshl_b64 s[18:19], s[2:3], 7
	s_waitcnt lgkmcnt(0)
	s_cmp_eq_u64 s[4:5], 0
	s_cbranch_scc1 .LBB10_2
; %bb.1:
	s_lshl_b64 s[6:7], s[18:19], 2
	s_delay_alu instid0(SALU_CYCLE_1)
	s_add_u32 s4, s4, s6
	s_addc_u32 s5, s5, s7
	global_load_b32 v10, v8, s[4:5]
	s_load_b64 s[12:13], s[0:1], 0x40
	s_waitcnt lgkmcnt(0)
	v_cmp_lt_i64_e64 s4, s[12:13], 1
	s_delay_alu instid0(VALU_DEP_1)
	s_and_b32 vcc_lo, exec_lo, s4
	s_cbranch_vccz .LBB10_3
	s_branch .LBB10_6
.LBB10_2:
	v_mov_b32_e32 v10, 0
	s_load_b64 s[12:13], s[0:1], 0x40
	s_waitcnt lgkmcnt(0)
	v_cmp_lt_i64_e64 s4, s[12:13], 1
	s_delay_alu instid0(VALU_DEP_1)
	s_and_b32 vcc_lo, exec_lo, s4
	s_cbranch_vccnz .LBB10_6
.LBB10_3:
	s_clause 0x1
	s_load_b128 s[8:11], s[0:1], 0x1c
	s_load_b128 s[4:7], s[0:1], 0x30
	v_alignbit_b32 v1, s3, s2, 25
	s_clause 0x1
	s_load_b64 s[16:17], s[0:1], 0x28
	s_load_b128 s[0:3], s[0:1], 0x0
	s_waitcnt lgkmcnt(0)
	s_mul_i32 s7, s14, s9
	s_ashr_i32 s9, s8, 31
	s_ashr_i32 s15, s10, 31
	s_mul_hi_u32 s22, s18, s8
	s_mul_i32 s25, s18, s9
	s_mul_hi_u32 s20, s18, s10
	s_mul_i32 s23, s19, s8
	s_mul_i32 s6, s14, s6
	;; [unrolled: 1-line block ×3, first 2 shown]
	s_add_i32 s22, s22, s25
	s_ashr_i32 s21, s10, 2
	s_ashr_i32 s15, s7, 31
	;; [unrolled: 1-line block ×3, first 2 shown]
	s_add_i32 s25, s20, s14
	s_add_i32 s20, s22, s23
	s_add_u32 s22, s16, s6
	s_addc_u32 s23, s17, s9
	s_ashr_i32 s14, s4, 31
	s_mul_hi_u32 s24, s18, s4
	s_mul_i32 s26, s18, s14
	s_mul_i32 s19, s19, s4
	;; [unrolled: 1-line block ×3, first 2 shown]
	s_add_i32 s4, s24, s26
	v_mul_lo_u32 v3, v1, s10
	s_add_i32 s19, s4, s19
	s_add_u32 s22, s22, s14
	s_addc_u32 s23, s23, s19
	s_mul_i32 s11, s18, s8
	v_mul_lo_u32 v1, s21, v0
	s_add_u32 s4, s0, s7
	s_addc_u32 s21, s1, s15
	s_add_u32 s4, s4, s11
	s_addc_u32 s21, s21, s20
	s_ashr_i32 s8, s8, 2
	v_add_nc_u32_e32 v4, s25, v3
	v_mul_lo_u32 v0, s8, v0
	v_ashrrev_i32_e32 v2, 31, v1
	s_mul_i32 s8, s18, s10
	s_cmp_eq_u64 s[12:13], 1
	v_add_co_u32 v5, vcc_lo, s2, s8
	s_delay_alu instid0(VALU_DEP_2) | instskip(SKIP_2) | instid1(VALU_DEP_1)
	v_lshlrev_b64 v[2:3], 2, v[1:2]
	v_add_co_ci_u32_e32 v4, vcc_lo, s3, v4, vcc_lo
	v_ashrrev_i32_e32 v1, 31, v0
	v_lshlrev_b64 v[6:7], 2, v[0:1]
	s_delay_alu instid0(VALU_DEP_4) | instskip(NEXT) | instid1(VALU_DEP_4)
	v_add_co_u32 v0, vcc_lo, v5, v2
	v_add_co_ci_u32_e32 v1, vcc_lo, v4, v3, vcc_lo
	s_delay_alu instid0(VALU_DEP_3) | instskip(NEXT) | instid1(VALU_DEP_4)
	v_add_co_u32 v3, vcc_lo, s4, v6
	v_add_co_ci_u32_e32 v4, vcc_lo, s21, v7, vcc_lo
	global_load_b96 v[0:2], v[0:1], off
	global_load_b96 v[3:5], v[3:4], off
	s_waitcnt vmcnt(0)
	v_fma_f32 v9, v0, v3, 0
	s_delay_alu instid0(VALU_DEP_1) | instskip(NEXT) | instid1(VALU_DEP_1)
	v_fmac_f32_e32 v9, v1, v4
	v_fmac_f32_e32 v9, v2, v5
	s_delay_alu instid0(VALU_DEP_1)
	v_add_f32_e32 v9, v10, v9
	global_store_b32 v8, v9, s[22:23]
	s_cbranch_scc1 .LBB10_6
; %bb.4:
	s_ashr_i32 s4, s5, 2
	s_delay_alu instid0(SALU_CYCLE_1)
	s_ashr_i32 s5, s4, 31
	s_add_u32 s0, s0, s7
	s_addc_u32 s1, s1, s15
	s_add_u32 s0, s0, s11
	s_addc_u32 s1, s1, s20
	s_add_u32 s2, s12, -1
	s_addc_u32 s3, s13, -1
	s_lshl_b64 s[4:5], s[4:5], 2
	v_add_co_u32 v6, vcc_lo, s0, v6
	s_add_u32 s0, s14, s4
	v_add_co_ci_u32_e32 v7, vcc_lo, s1, v7, vcc_lo
	s_addc_u32 s1, s19, s5
	s_add_u32 s6, s16, s6
	s_addc_u32 s7, s17, s9
	s_add_u32 s0, s6, s0
	v_add_co_u32 v6, vcc_lo, v6, 12
	s_addc_u32 s1, s7, s1
	v_add_co_u32 v8, s0, s0, v8
	v_add_co_ci_u32_e32 v7, vcc_lo, 0, v7, vcc_lo
	v_add_co_ci_u32_e64 v9, null, s1, 0, s0
	s_mov_b64 s[6:7], 1
	s_mov_b64 s[8:9], 3
	;; [unrolled: 1-line block ×4, first 2 shown]
.LBB10_5:                               ; =>This Inner Loop Header: Depth=1
	global_load_b32 v11, v[6:7], off
	s_add_u32 s0, 0, 0x55500000
	s_addc_u32 s1, 0, 0x155
	s_mul_hi_u32 s15, s0, -3
	s_add_i32 s1, s1, 0x55555400
	s_sub_i32 s15, s15, s0
	s_mul_i32 s18, s1, -3
	s_mul_i32 s14, s0, -3
	s_add_i32 s15, s15, s18
	s_mul_hi_u32 s16, s0, s14
	s_mul_i32 s19, s0, s15
	s_mul_hi_u32 s18, s0, s15
	s_mul_hi_u32 s17, s1, s14
	s_mul_i32 s14, s1, s14
	s_add_u32 s16, s16, s19
	s_addc_u32 s18, 0, s18
	s_mul_hi_u32 s20, s1, s15
	s_add_u32 s14, s16, s14
	s_mul_i32 s15, s1, s15
	s_addc_u32 s14, s18, s17
	s_addc_u32 s16, s20, 0
	s_add_u32 s14, s14, s15
	s_addc_u32 s15, 0, s16
	v_add_co_u32 v12, s0, s0, s14
	s_delay_alu instid0(VALU_DEP_1) | instskip(SKIP_2) | instid1(VALU_DEP_2)
	s_cmp_lg_u32 s0, 0
	v_add_co_u32 v6, vcc_lo, v6, 4
	s_addc_u32 s0, s1, s15
	v_readfirstlane_b32 s1, v12
	s_mul_i32 s15, s6, s0
	s_mul_hi_u32 s14, s6, s0
	s_mul_hi_u32 s16, s7, s0
	s_mul_i32 s17, s7, s0
	s_mul_hi_u32 s29, s6, s1
	s_mul_i32 s31, s7, s1
	s_add_u32 s15, s29, s15
	s_mul_hi_u32 s30, s7, s1
	s_addc_u32 s14, 0, s14
	s_add_u32 s15, s15, s31
	s_addc_u32 s14, s14, s30
	s_addc_u32 s15, s16, 0
	s_add_u32 s14, s14, s17
	s_addc_u32 s15, 0, s15
	s_mul_hi_u32 s16, s14, 3
	s_mul_i32 s14, s14, 3
	s_mul_i32 s15, s15, 3
	v_sub_co_u32 v12, s14, s6, s14
	v_add_co_ci_u32_e32 v7, vcc_lo, 0, v7, vcc_lo
	s_add_i32 s16, s16, s15
	s_delay_alu instid0(VALU_DEP_2)
	v_sub_co_u32 v13, s15, v12, 3
	v_cmp_lt_u32_e32 vcc_lo, 2, v12
	s_cmp_lg_u32 s14, 0
	s_mul_i32 s19, s8, s0
	s_subb_u32 s14, s7, s16
	s_cmp_lg_u32 s15, 0
	v_cndmask_b32_e64 v14, 0, -1, vcc_lo
	v_cmp_lt_u32_e32 vcc_lo, 2, v13
	s_subb_u32 s15, s14, 0
	s_mul_hi_u32 s33, s8, s1
	s_cmp_eq_u32 s15, 0
	s_mul_hi_u32 s18, s8, s0
	v_cndmask_b32_e64 v15, 0, -1, vcc_lo
	s_cselect_b32 vcc_lo, -1, 0
	s_cmp_eq_u32 s14, 0
	v_add_nc_u32_e32 v16, -3, v13
	s_mul_i32 s35, s9, s1
	v_cndmask_b32_e32 v15, -1, v15, vcc_lo
	s_cselect_b32 vcc_lo, -1, 0
	s_add_u32 s14, s33, s19
	s_mul_hi_u32 s34, s9, s1
	s_addc_u32 s15, 0, s18
	s_mul_hi_u32 s20, s9, s0
	s_add_u32 s14, s14, s35
	s_mul_i32 s21, s9, s0
	s_addc_u32 s14, s15, s34
	v_cndmask_b32_e32 v14, -1, v14, vcc_lo
	s_addc_u32 s15, s20, 0
	v_cmp_ne_u32_e32 vcc_lo, 0, v15
	s_add_u32 s14, s14, s21
	s_addc_u32 s15, 0, s15
	s_mul_hi_u32 s16, s14, 3
	s_mul_i32 s14, s14, 3
	v_cndmask_b32_e32 v13, v13, v16, vcc_lo
	v_cmp_ne_u32_e32 vcc_lo, 0, v14
	v_sub_co_u32 v14, s14, s8, s14
	s_mul_i32 s15, s15, 3
	s_mul_i32 s23, s10, s0
	v_cndmask_b32_e32 v12, v12, v13, vcc_lo
	s_add_i32 s16, s16, s15
	v_sub_co_u32 v13, s15, v14, 3
	v_cmp_lt_u32_e32 vcc_lo, 2, v14
	s_cmp_lg_u32 s14, 0
	s_mul_hi_u32 s36, s10, s1
	s_subb_u32 s14, s9, s16
	s_cmp_lg_u32 s15, 0
	v_cndmask_b32_e64 v15, 0, -1, vcc_lo
	v_cmp_lt_u32_e32 vcc_lo, 2, v13
	s_subb_u32 s15, s14, 0
	s_mul_hi_u32 s22, s10, s0
	s_cmp_eq_u32 s15, 0
	s_mul_i32 s38, s11, s1
	v_cndmask_b32_e64 v16, 0, -1, vcc_lo
	s_cselect_b32 vcc_lo, -1, 0
	s_cmp_eq_u32 s14, 0
	v_add_nc_u32_e32 v17, -3, v13
	s_mul_hi_u32 s37, s11, s1
	v_cndmask_b32_e32 v16, -1, v16, vcc_lo
	s_cselect_b32 vcc_lo, -1, 0
	s_add_u32 s14, s36, s23
	s_addc_u32 s15, 0, s22
	s_mul_hi_u32 s24, s11, s0
	s_add_u32 s14, s14, s38
	s_mul_i32 s25, s11, s0
	s_addc_u32 s14, s15, s37
	v_cndmask_b32_e32 v15, -1, v15, vcc_lo
	s_addc_u32 s15, s24, 0
	v_cmp_ne_u32_e32 vcc_lo, 0, v16
	s_add_u32 s14, s14, s25
	s_addc_u32 s15, 0, s15
	s_mul_hi_u32 s16, s14, 3
	s_mul_i32 s14, s14, 3
	v_cndmask_b32_e32 v13, v13, v17, vcc_lo
	v_cmp_ne_u32_e32 vcc_lo, 0, v15
	v_sub_co_u32 v15, s14, s10, s14
	s_mul_i32 s15, s15, 3
	s_mul_i32 s27, s12, s0
	v_cndmask_b32_e32 v13, v14, v13, vcc_lo
	s_add_i32 s16, s16, s15
	v_sub_co_u32 v14, s15, v15, 3
	v_cmp_lt_u32_e32 vcc_lo, 2, v15
	s_cmp_lg_u32 s14, 0
	s_mul_hi_u32 s39, s12, s1
	s_subb_u32 s14, s11, s16
	s_cmp_lg_u32 s15, 0
	v_cndmask_b32_e64 v16, 0, -1, vcc_lo
	v_cmp_lt_u32_e32 vcc_lo, 2, v14
	s_subb_u32 s15, s14, 0
	s_mul_hi_u32 s26, s12, s0
	s_cmp_eq_u32 s15, 0
	v_add_nc_u32_e32 v18, -3, v14
	v_cndmask_b32_e64 v17, 0, -1, vcc_lo
	s_cselect_b32 vcc_lo, -1, 0
	s_cmp_eq_u32 s14, 0
	s_mul_hi_u32 s40, s13, s1
	s_mul_i32 s1, s13, s1
	v_cndmask_b32_e32 v17, -1, v17, vcc_lo
	s_cselect_b32 vcc_lo, -1, 0
	s_add_u32 s14, s39, s27
	s_addc_u32 s15, 0, s26
	s_mul_hi_u32 s28, s13, s0
	s_add_u32 s1, s14, s1
	s_mul_i32 s0, s13, s0
	s_addc_u32 s1, s15, s40
	v_cndmask_b32_e32 v16, -1, v16, vcc_lo
	s_addc_u32 s14, s28, 0
	v_cmp_ne_u32_e32 vcc_lo, 0, v17
	s_add_u32 s0, s1, s0
	s_addc_u32 s1, 0, s14
	s_mul_hi_u32 s14, s0, 3
	s_mul_i32 s0, s0, 3
	v_cndmask_b32_e32 v14, v14, v18, vcc_lo
	v_cmp_ne_u32_e32 vcc_lo, 0, v16
	v_sub_co_u32 v16, s0, s12, s0
	s_mul_i32 s1, s1, 3
	s_delay_alu instid0(VALU_DEP_3) | instskip(SKIP_1) | instid1(VALU_DEP_2)
	v_cndmask_b32_e32 v14, v15, v14, vcc_lo
	s_add_i32 s14, s14, s1
	v_sub_co_u32 v15, s1, v16, 3
	v_cmp_lt_u32_e32 vcc_lo, 2, v16
	s_cmp_lg_u32 s0, 0
	s_delay_alu instid0(VALU_DEP_2)
	v_add_nc_u32_e32 v19, -3, v15
	s_subb_u32 s0, s13, s14
	v_cndmask_b32_e64 v17, 0, -1, vcc_lo
	v_cmp_lt_u32_e32 vcc_lo, 2, v15
	s_cmp_lg_u32 s1, 0
	s_subb_u32 s1, s0, 0
	v_cndmask_b32_e64 v18, 0, -1, vcc_lo
	s_cmp_eq_u32 s1, 0
	s_cselect_b32 vcc_lo, -1, 0
	s_cmp_eq_u32 s0, 0
	s_delay_alu instid0(VALU_DEP_1)
	v_cndmask_b32_e32 v18, -1, v18, vcc_lo
	s_cselect_b32 vcc_lo, -1, 0
	s_add_u32 s6, s6, 1
	v_cndmask_b32_e32 v17, -1, v17, vcc_lo
	s_addc_u32 s7, s7, 0
	v_cmp_ne_u32_e32 vcc_lo, 0, v18
	s_add_u32 s8, s8, 1
	s_addc_u32 s9, s9, 0
	s_add_u32 s2, s2, -1
	s_addc_u32 s3, s3, -1
	v_cndmask_b32_e32 v15, v15, v19, vcc_lo
	v_cmp_ne_u32_e32 vcc_lo, 0, v17
	s_add_u32 s10, s10, 1
	s_addc_u32 s11, s11, 0
	s_add_u32 s12, s12, 1
	s_addc_u32 s13, s13, 0
	v_cndmask_b32_e32 v15, v16, v15, vcc_lo
	s_cmp_eq_u64 s[2:3], 0
	s_delay_alu instid0(VALU_DEP_1) | instskip(SKIP_3) | instid1(VALU_DEP_2)
	v_cmp_eq_u32_e64 s0, 0, v15
	v_cmp_eq_u32_e64 s1, 1, v15
	v_cmp_eq_u32_e32 vcc_lo, 2, v15
	s_waitcnt vmcnt(0)
	v_cndmask_b32_e64 v4, v4, v11, s1
	v_cndmask_b32_e64 v3, v3, v11, s0
	v_cmp_eq_u32_e64 s1, 1, v12
	v_cndmask_b32_e32 v5, v5, v11, vcc_lo
	v_cmp_eq_u32_e32 vcc_lo, 1, v14
	v_cmp_eq_u32_e64 s0, 1, v13
	s_delay_alu instid0(VALU_DEP_4)
	v_cndmask_b32_e64 v11, v3, v4, s1
	v_cmp_eq_u32_e64 s1, 2, v12
	v_cndmask_b32_e32 v15, v3, v4, vcc_lo
	v_cmp_eq_u32_e32 vcc_lo, 2, v14
	v_cndmask_b32_e64 v14, v3, v4, s0
	v_cmp_eq_u32_e64 s0, 2, v13
	v_cndmask_b32_e64 v11, v11, v5, s1
	v_cndmask_b32_e32 v12, v15, v5, vcc_lo
	s_delay_alu instid0(VALU_DEP_3) | instskip(NEXT) | instid1(VALU_DEP_3)
	v_cndmask_b32_e64 v13, v14, v5, s0
	v_fma_f32 v11, v0, v11, 0
	s_delay_alu instid0(VALU_DEP_1) | instskip(NEXT) | instid1(VALU_DEP_1)
	v_fmac_f32_e32 v11, v1, v12
	v_fmac_f32_e32 v11, v2, v13
	s_delay_alu instid0(VALU_DEP_1)
	v_add_f32_e32 v11, v10, v11
	global_store_b32 v[8:9], v11, off
	v_add_co_u32 v8, vcc_lo, v8, s4
	v_add_co_ci_u32_e32 v9, vcc_lo, s5, v9, vcc_lo
	s_cbranch_scc0 .LBB10_5
.LBB10_6:
	s_nop 0
	s_sendmsg sendmsg(MSG_DEALLOC_VGPRS)
	s_endpgm
	.section	.rodata,"a",@progbits
	.p2align	6, 0x0
	.amdhsa_kernel _ZL12ssm_conv_f32ILb0ELm128ELm3EEvPKfS1_S1_iiiiPfiiil
		.amdhsa_group_segment_fixed_size 0
		.amdhsa_private_segment_fixed_size 0
		.amdhsa_kernarg_size 72
		.amdhsa_user_sgpr_count 14
		.amdhsa_user_sgpr_dispatch_ptr 0
		.amdhsa_user_sgpr_queue_ptr 0
		.amdhsa_user_sgpr_kernarg_segment_ptr 1
		.amdhsa_user_sgpr_dispatch_id 0
		.amdhsa_user_sgpr_private_segment_size 0
		.amdhsa_wavefront_size32 1
		.amdhsa_uses_dynamic_stack 0
		.amdhsa_enable_private_segment 0
		.amdhsa_system_sgpr_workgroup_id_x 1
		.amdhsa_system_sgpr_workgroup_id_y 1
		.amdhsa_system_sgpr_workgroup_id_z 0
		.amdhsa_system_sgpr_workgroup_info 0
		.amdhsa_system_vgpr_workitem_id 0
		.amdhsa_next_free_vgpr 20
		.amdhsa_next_free_sgpr 41
		.amdhsa_reserve_vcc 1
		.amdhsa_float_round_mode_32 0
		.amdhsa_float_round_mode_16_64 0
		.amdhsa_float_denorm_mode_32 3
		.amdhsa_float_denorm_mode_16_64 3
		.amdhsa_dx10_clamp 1
		.amdhsa_ieee_mode 1
		.amdhsa_fp16_overflow 0
		.amdhsa_workgroup_processor_mode 1
		.amdhsa_memory_ordered 1
		.amdhsa_forward_progress 0
		.amdhsa_shared_vgpr_count 0
		.amdhsa_exception_fp_ieee_invalid_op 0
		.amdhsa_exception_fp_denorm_src 0
		.amdhsa_exception_fp_ieee_div_zero 0
		.amdhsa_exception_fp_ieee_overflow 0
		.amdhsa_exception_fp_ieee_underflow 0
		.amdhsa_exception_fp_ieee_inexact 0
		.amdhsa_exception_int_div_zero 0
	.end_amdhsa_kernel
	.section	.text._ZL12ssm_conv_f32ILb0ELm128ELm3EEvPKfS1_S1_iiiiPfiiil,"axG",@progbits,_ZL12ssm_conv_f32ILb0ELm128ELm3EEvPKfS1_S1_iiiiPfiiil,comdat
.Lfunc_end10:
	.size	_ZL12ssm_conv_f32ILb0ELm128ELm3EEvPKfS1_S1_iiiiPfiiil, .Lfunc_end10-_ZL12ssm_conv_f32ILb0ELm128ELm3EEvPKfS1_S1_iiiiPfiiil
                                        ; -- End function
	.section	.AMDGPU.csdata,"",@progbits
; Kernel info:
; codeLenInByte = 1692
; NumSgprs: 43
; NumVgprs: 20
; ScratchSize: 0
; MemoryBound: 0
; FloatMode: 240
; IeeeMode: 1
; LDSByteSize: 0 bytes/workgroup (compile time only)
; SGPRBlocks: 5
; VGPRBlocks: 2
; NumSGPRsForWavesPerEU: 43
; NumVGPRsForWavesPerEU: 20
; Occupancy: 16
; WaveLimiterHint : 0
; COMPUTE_PGM_RSRC2:SCRATCH_EN: 0
; COMPUTE_PGM_RSRC2:USER_SGPR: 14
; COMPUTE_PGM_RSRC2:TRAP_HANDLER: 0
; COMPUTE_PGM_RSRC2:TGID_X_EN: 1
; COMPUTE_PGM_RSRC2:TGID_Y_EN: 1
; COMPUTE_PGM_RSRC2:TGID_Z_EN: 0
; COMPUTE_PGM_RSRC2:TIDIG_COMP_CNT: 0
	.section	.text._ZL23ssm_conv_long_token_f32ILb0ELm128ELm3ELl32EEvPKfS1_S1_iiiiPfiiil,"axG",@progbits,_ZL23ssm_conv_long_token_f32ILb0ELm128ELm3ELl32EEvPKfS1_S1_iiiiPfiiil,comdat
	.globl	_ZL23ssm_conv_long_token_f32ILb0ELm128ELm3ELl32EEvPKfS1_S1_iiiiPfiiil ; -- Begin function _ZL23ssm_conv_long_token_f32ILb0ELm128ELm3ELl32EEvPKfS1_S1_iiiiPfiiil
	.p2align	8
	.type	_ZL23ssm_conv_long_token_f32ILb0ELm128ELm3ELl32EEvPKfS1_S1_iiiiPfiiil,@function
_ZL23ssm_conv_long_token_f32ILb0ELm128ELm3ELl32EEvPKfS1_S1_iiiiPfiiil: ; @_ZL23ssm_conv_long_token_f32ILb0ELm128ELm3ELl32EEvPKfS1_S1_iiiiPfiiil
; %bb.0:
	v_mul_u32_u24_e32 v1, 0x788, v0
	s_clause 0x1
	s_load_b128 s[4:7], s[0:1], 0x18
	s_load_b64 s[8:9], s[0:1], 0x0
	s_mov_b32 s2, s15
	v_lshrrev_b32_e32 v14, 16, v1
	s_delay_alu instid0(VALU_DEP_1) | instskip(NEXT) | instid1(VALU_DEP_1)
	v_mul_lo_u16 v1, v14, 34
	v_sub_nc_u16 v12, v0, v1
	s_delay_alu instid0(VALU_DEP_1) | instskip(SKIP_2) | instid1(SALU_CYCLE_1)
	v_or_b32_e32 v1, 0x80, v12
	s_waitcnt lgkmcnt(0)
	s_mul_i32 s3, s13, s6
	s_ashr_i32 s6, s3, 31
	s_add_u32 s8, s8, s3
	v_mul_lo_u16 v2, 0xf1, v1
	s_addc_u32 s9, s9, s6
	s_ashr_i32 s6, s5, 2
	s_ashr_i32 s15, s14, 31
	;; [unrolled: 1-line block ×3, first 2 shown]
	v_lshrrev_b16 v17, 13, v2
	v_alignbit_b32 v18, s15, s14, 25
	s_ashr_i32 s3, s2, 31
	s_lshl_b64 s[16:17], s[14:15], 7
	s_lshl_b64 s[14:15], s[2:3], 5
	v_mul_lo_u16 v2, v17, 34
	v_mul_lo_u32 v18, v18, s5
	v_alignbit_b32 v20, s3, s2, 27
	s_mul_i32 s2, s16, s10
	s_mul_hi_u32 s3, s16, s5
	v_sub_nc_u16 v1, v1, v2
	s_add_i32 s3, s3, s2
	v_and_b32_e32 v22, 0xffff, v17
	v_mul_lo_u32 v20, v20, s4
	v_add_nc_u32_e32 v23, s3, v18
	v_and_b32_e32 v1, 0xff, v1
	s_ashr_i32 s11, s4, 31
	v_add_nc_u32_e32 v44, v14, v22
	s_mul_i32 s10, s16, s5
	s_mul_i32 s11, s14, s11
	v_or_b32_e32 v2, 0x80, v1
	s_mul_hi_u32 s12, s14, s4
	v_add_co_u32 v22, vcc_lo, s8, s10
	s_add_i32 s12, s12, s11
	s_delay_alu instid0(VALU_DEP_2) | instskip(SKIP_3) | instid1(VALU_DEP_3)
	v_mul_lo_u16 v3, 0xf1, v2
	v_add_nc_u32_e32 v28, s12, v20
	v_add_co_ci_u32_e32 v23, vcc_lo, s9, v23, vcc_lo
	s_mul_i32 s5, s14, s4
	v_lshrrev_b16 v19, 13, v3
	s_mov_b32 s2, exec_lo
	s_delay_alu instid0(VALU_DEP_1) | instskip(NEXT) | instid1(VALU_DEP_1)
	v_mul_lo_u16 v3, v19, 34
	v_sub_nc_u16 v2, v2, v3
	s_delay_alu instid0(VALU_DEP_1) | instskip(NEXT) | instid1(VALU_DEP_1)
	v_and_b32_e32 v2, 0xff, v2
	v_or_b32_e32 v3, 0x80, v2
	s_delay_alu instid0(VALU_DEP_1) | instskip(NEXT) | instid1(VALU_DEP_1)
	v_mul_lo_u16 v4, 0xf1, v3
	v_lshrrev_b16 v24, 13, v4
	s_delay_alu instid0(VALU_DEP_1) | instskip(NEXT) | instid1(VALU_DEP_1)
	v_mul_lo_u16 v4, v24, 34
	v_sub_nc_u16 v3, v3, v4
	s_delay_alu instid0(VALU_DEP_1) | instskip(NEXT) | instid1(VALU_DEP_1)
	v_and_b32_e32 v3, 0xff, v3
	v_or_b32_e32 v4, 0x80, v3
	s_delay_alu instid0(VALU_DEP_1) | instskip(NEXT) | instid1(VALU_DEP_1)
	v_mul_lo_u16 v5, 0xf1, v4
	v_lshrrev_b16 v25, 13, v5
	;; [unrolled: 9-line block ×3, first 2 shown]
	s_delay_alu instid0(VALU_DEP_1) | instskip(SKIP_1) | instid1(VALU_DEP_2)
	v_mul_lo_u16 v6, v26, 34
	v_and_b32_e32 v26, 0xffff, v26
	v_sub_nc_u16 v5, v5, v6
	s_delay_alu instid0(VALU_DEP_1) | instskip(NEXT) | instid1(VALU_DEP_1)
	v_and_b32_e32 v5, 0xff, v5
	v_or_b32_e32 v6, 0x80, v5
	s_delay_alu instid0(VALU_DEP_1) | instskip(NEXT) | instid1(VALU_DEP_1)
	v_mul_lo_u16 v7, 0xf1, v6
	v_lshrrev_b16 v31, 13, v7
	s_delay_alu instid0(VALU_DEP_1) | instskip(NEXT) | instid1(VALU_DEP_1)
	v_mul_lo_u16 v7, v31, 34
	v_sub_nc_u16 v6, v6, v7
	s_delay_alu instid0(VALU_DEP_1) | instskip(NEXT) | instid1(VALU_DEP_1)
	v_and_b32_e32 v6, 0xff, v6
	v_or_b32_e32 v7, 0x80, v6
	s_delay_alu instid0(VALU_DEP_1) | instskip(NEXT) | instid1(VALU_DEP_1)
	v_mul_lo_u16 v8, 0xf1, v7
	v_lshrrev_b16 v33, 13, v8
	s_delay_alu instid0(VALU_DEP_1) | instskip(NEXT) | instid1(VALU_DEP_1)
	v_mul_lo_u16 v8, v33, 34
	v_sub_nc_u16 v7, v7, v8
	s_delay_alu instid0(VALU_DEP_1) | instskip(NEXT) | instid1(VALU_DEP_1)
	v_and_b32_e32 v7, 0xff, v7
	v_or_b32_e32 v8, 0x80, v7
	s_delay_alu instid0(VALU_DEP_1) | instskip(NEXT) | instid1(VALU_DEP_1)
	v_mul_lo_u16 v9, 0xf1, v8
	v_lshrrev_b16 v36, 13, v9
	s_delay_alu instid0(VALU_DEP_1) | instskip(SKIP_1) | instid1(VALU_DEP_2)
	v_mul_lo_u16 v9, v36, 34
	v_and_b32_e32 v36, 0xffff, v36
	v_sub_nc_u16 v8, v8, v9
	s_delay_alu instid0(VALU_DEP_1) | instskip(NEXT) | instid1(VALU_DEP_1)
	v_and_b32_e32 v8, 0xff, v8
	v_or_b32_e32 v9, 0x80, v8
	s_delay_alu instid0(VALU_DEP_1) | instskip(NEXT) | instid1(VALU_DEP_1)
	v_mul_lo_u16 v10, 0xf1, v9
	v_lshrrev_b16 v37, 13, v10
	s_delay_alu instid0(VALU_DEP_1) | instskip(NEXT) | instid1(VALU_DEP_1)
	v_mul_lo_u16 v10, v37, 34
	v_sub_nc_u16 v9, v9, v10
	s_delay_alu instid0(VALU_DEP_1) | instskip(NEXT) | instid1(VALU_DEP_1)
	v_and_b32_e32 v9, 0xff, v9
	v_or_b32_e32 v10, 0x80, v9
	s_delay_alu instid0(VALU_DEP_1) | instskip(NEXT) | instid1(VALU_DEP_1)
	v_mul_lo_u16 v11, 0xf1, v10
	v_lshrrev_b16 v40, 13, v11
	s_delay_alu instid0(VALU_DEP_1) | instskip(NEXT) | instid1(VALU_DEP_1)
	v_mul_lo_u16 v11, v40, 34
	;; [unrolled: 9-line block ×3, first 2 shown]
	v_sub_nc_u16 v11, v11, v13
	s_delay_alu instid0(VALU_DEP_1) | instskip(NEXT) | instid1(VALU_DEP_1)
	v_and_b32_e32 v11, 0xff, v11
	v_or_b32_e32 v13, 0x80, v11
	s_delay_alu instid0(VALU_DEP_1) | instskip(NEXT) | instid1(VALU_DEP_1)
	v_mul_lo_u16 v15, 0xf1, v13
	v_lshrrev_b16 v42, 13, v15
	v_and_b32_e32 v15, 0xffff, v12
	s_delay_alu instid0(VALU_DEP_2) | instskip(NEXT) | instid1(VALU_DEP_1)
	v_mul_lo_u16 v12, v42, 34
	v_sub_nc_u16 v12, v13, v12
	s_delay_alu instid0(VALU_DEP_1) | instskip(NEXT) | instid1(VALU_DEP_1)
	v_and_b32_e32 v16, 0xff, v12
	v_or_b32_e32 v21, 0x80, v16
	v_mad_u64_u32 v[12:13], null, s6, v14, v[15:16]
	v_mad_u32_u24 v14, v14, 34, v15
	s_delay_alu instid0(VALU_DEP_3) | instskip(NEXT) | instid1(VALU_DEP_2)
	v_mul_lo_u16 v13, 0xf1, v21
	v_lshl_add_u32 v14, v14, 2, 0
	s_delay_alu instid0(VALU_DEP_2) | instskip(SKIP_1) | instid1(VALU_DEP_2)
	v_lshrrev_b16 v43, 13, v13
	v_ashrrev_i32_e32 v13, 31, v12
	v_mul_lo_u16 v27, v43, 34
	s_delay_alu instid0(VALU_DEP_2) | instskip(SKIP_2) | instid1(VALU_DEP_4)
	v_lshlrev_b64 v[17:18], 2, v[12:13]
	v_and_b32_e32 v12, 0xffff, v19
	v_mad_u64_u32 v[19:20], null, v44, s6, v[1:2]
	v_sub_nc_u16 v13, v21, v27
	v_mad_u32_u24 v1, v44, 34, v1
	s_delay_alu instid0(VALU_DEP_4) | instskip(SKIP_1) | instid1(VALU_DEP_4)
	v_add_nc_u32_e32 v45, v44, v12
	v_add_co_u32 v12, vcc_lo, v22, s5
	v_and_b32_e32 v21, 0xff, v13
	v_add_co_ci_u32_e32 v13, vcc_lo, v23, v28, vcc_lo
	s_delay_alu instid0(VALU_DEP_4) | instskip(NEXT) | instid1(VALU_DEP_3)
	v_mad_u64_u32 v[22:23], null, v45, s6, v[2:3]
	v_or_b32_e32 v27, 0x80, v21
	v_and_b32_e32 v23, 0xffff, v24
	v_and_b32_e32 v28, 0xffff, v25
	v_ashrrev_i32_e32 v20, 31, v19
	v_add_co_u32 v17, vcc_lo, v12, v17
	v_mul_lo_u16 v24, 0xf1, v27
	v_add_nc_u32_e32 v47, v45, v23
	v_ashrrev_i32_e32 v23, 31, v22
	v_lshlrev_b64 v[19:20], 2, v[19:20]
	v_add_co_ci_u32_e32 v18, vcc_lo, v13, v18, vcc_lo
	v_lshrrev_b16 v46, 13, v24
	v_add_nc_u32_e32 v48, v47, v28
	v_mad_u64_u32 v[24:25], null, v47, s6, v[3:4]
	v_lshlrev_b64 v[22:23], 2, v[22:23]
	s_delay_alu instid0(VALU_DEP_4) | instskip(NEXT) | instid1(VALU_DEP_4)
	v_mul_lo_u16 v29, v46, 34
	v_add_nc_u32_e32 v49, v48, v26
	v_add_co_u32 v19, vcc_lo, v12, v19
	v_add_co_ci_u32_e32 v20, vcc_lo, v13, v20, vcc_lo
	s_delay_alu instid0(VALU_DEP_4) | instskip(NEXT) | instid1(VALU_DEP_4)
	v_sub_nc_u16 v27, v27, v29
	v_mad_u64_u32 v[29:30], null, v49, s6, v[5:6]
	v_ashrrev_i32_e32 v25, 31, v24
	v_add_co_u32 v22, vcc_lo, v12, v22
	s_delay_alu instid0(VALU_DEP_4) | instskip(SKIP_3) | instid1(VALU_DEP_4)
	v_and_b32_e32 v26, 0xff, v27
	v_mad_u64_u32 v[27:28], null, v48, s6, v[4:5]
	v_and_b32_e32 v28, 0xffff, v31
	v_lshlrev_b64 v[24:25], 2, v[24:25]
	v_or_b32_e32 v35, 0x80, v26
	v_ashrrev_i32_e32 v30, 31, v29
	v_add_co_ci_u32_e32 v23, vcc_lo, v13, v23, vcc_lo
	v_add_nc_u32_e32 v50, v49, v28
	s_delay_alu instid0(VALU_DEP_4) | instskip(SKIP_2) | instid1(VALU_DEP_4)
	v_mul_lo_u16 v34, 0xf1, v35
	v_ashrrev_i32_e32 v28, 31, v27
	v_add_co_u32 v24, vcc_lo, v12, v24
	v_mad_u64_u32 v[31:32], null, v50, s6, v[6:7]
	v_and_b32_e32 v32, 0xffff, v33
	v_lshrrev_b16 v51, 13, v34
	v_lshlrev_b64 v[27:28], 2, v[27:28]
	v_lshlrev_b64 v[29:30], 2, v[29:30]
	v_add_co_ci_u32_e32 v25, vcc_lo, v13, v25, vcc_lo
	v_add_nc_u32_e32 v52, v50, v32
	v_mul_lo_u16 v38, v51, 34
	v_ashrrev_i32_e32 v32, 31, v31
	v_add_co_u32 v27, vcc_lo, v12, v27
	s_delay_alu instid0(VALU_DEP_4) | instskip(NEXT) | instid1(VALU_DEP_4)
	v_mad_u64_u32 v[33:34], null, v52, s6, v[7:8]
	v_sub_nc_u16 v34, v35, v38
	v_add_nc_u32_e32 v54, v52, v36
	v_and_b32_e32 v38, 0xffff, v37
	v_lshlrev_b64 v[31:32], 2, v[31:32]
	v_add_co_ci_u32_e32 v28, vcc_lo, v13, v28, vcc_lo
	v_and_b32_e32 v35, 0xff, v34
	s_delay_alu instid0(VALU_DEP_4) | instskip(SKIP_2) | instid1(VALU_DEP_4)
	v_add_nc_u32_e32 v55, v54, v38
	v_ashrrev_i32_e32 v34, 31, v33
	v_mad_u64_u32 v[36:37], null, v54, s6, v[8:9]
	v_or_b32_e32 v53, 0x80, v35
	v_add_co_u32 v29, vcc_lo, v12, v29
	s_delay_alu instid0(VALU_DEP_4) | instskip(SKIP_1) | instid1(VALU_DEP_4)
	v_lshlrev_b64 v[33:34], 2, v[33:34]
	v_add_co_ci_u32_e32 v30, vcc_lo, v13, v30, vcc_lo
	v_mul_lo_u16 v39, 0xf1, v53
	v_add_co_u32 v31, vcc_lo, v12, v31
	v_ashrrev_i32_e32 v37, 31, v36
	v_add_co_ci_u32_e32 v32, vcc_lo, v13, v32, vcc_lo
	s_delay_alu instid0(VALU_DEP_4) | instskip(SKIP_3) | instid1(VALU_DEP_4)
	v_lshrrev_b16 v56, 13, v39
	v_mad_u64_u32 v[38:39], null, v55, s6, v[9:10]
	v_and_b32_e32 v39, 0xffff, v40
	v_add_co_u32 v33, vcc_lo, v12, v33
	v_mul_lo_u16 v57, v56, 34
	v_add_co_ci_u32_e32 v34, vcc_lo, v13, v34, vcc_lo
	s_delay_alu instid0(VALU_DEP_4) | instskip(SKIP_1) | instid1(VALU_DEP_4)
	v_add_nc_u32_e32 v64, v55, v39
	v_ashrrev_i32_e32 v39, 31, v38
	v_sub_nc_u16 v40, v53, v57
	s_clause 0x7
	global_load_b32 v53, v[17:18], off
	global_load_b32 v57, v[19:20], off
	;; [unrolled: 1-line block ×8, first 2 shown]
	v_lshlrev_b64 v[17:18], 2, v[36:37]
	v_and_b32_e32 v20, 0xffff, v41
	v_lshlrev_b64 v[24:25], 2, v[38:39]
	v_and_b32_e32 v19, 0xff, v40
	v_mad_u64_u32 v[22:23], null, v64, s6, v[10:11]
	v_add_co_u32 v17, vcc_lo, v12, v17
	v_add_co_ci_u32_e32 v18, vcc_lo, v13, v18, vcc_lo
	v_add_co_u32 v24, vcc_lo, v12, v24
	v_add_co_ci_u32_e32 v25, vcc_lo, v13, v25, vcc_lo
	s_clause 0x1
	global_load_b32 v71, v[17:18], off
	global_load_b32 v25, v[24:25], off
	v_or_b32_e32 v29, 0x80, v19
	v_add_nc_u32_e32 v65, v64, v20
	v_and_b32_e32 v20, 0xffff, v42
	v_ashrrev_i32_e32 v23, 31, v22
	v_and_b32_e32 v40, 0xffff, v56
	v_mul_lo_u16 v27, 0xf1, v29
	v_mad_u32_u24 v15, v45, 34, v2
	v_add_nc_u32_e32 v66, v65, v20
	v_and_b32_e32 v20, 0xffff, v43
	v_lshlrev_b64 v[22:23], 2, v[22:23]
	v_lshrrev_b16 v39, 13, v27
	v_mad_u64_u32 v[27:28], null, v65, s6, v[11:12]
	s_delay_alu instid0(VALU_DEP_4) | instskip(SKIP_1) | instid1(VALU_DEP_4)
	v_add_nc_u32_e32 v43, v66, v20
	v_mad_u32_u24 v3, v47, 34, v3
	v_mul_lo_u16 v30, v39, 34
	v_and_b32_e32 v41, 0xffff, v39
	s_delay_alu instid0(VALU_DEP_4) | instskip(NEXT) | instid1(VALU_DEP_3)
	v_mad_u64_u32 v[31:32], null, v43, s6, v[21:22]
	v_sub_nc_u16 v20, v29, v30
	v_ashrrev_i32_e32 v28, 31, v27
	v_mad_u64_u32 v[29:30], null, v66, s6, v[16:17]
	v_and_b32_e32 v30, 0xffff, v46
	s_delay_alu instid0(VALU_DEP_4) | instskip(NEXT) | instid1(VALU_DEP_4)
	v_and_b32_e32 v20, 0xff, v20
	v_lshlrev_b64 v[27:28], 2, v[27:28]
	v_ashrrev_i32_e32 v32, 31, v31
	v_add_co_u32 v22, vcc_lo, v12, v22
	v_add_nc_u32_e32 v46, v43, v30
	v_or_b32_e32 v38, 0x80, v20
	v_ashrrev_i32_e32 v30, 31, v29
	v_add_co_ci_u32_e32 v23, vcc_lo, v13, v23, vcc_lo
	s_delay_alu instid0(VALU_DEP_4) | instskip(SKIP_4) | instid1(VALU_DEP_4)
	v_mad_u64_u32 v[33:34], null, v46, s6, v[26:27]
	v_and_b32_e32 v34, 0xffff, v51
	v_mul_lo_u16 v36, 0xf1, v38
	v_lshlrev_b64 v[29:30], 2, v[29:30]
	v_add_co_u32 v27, vcc_lo, v12, v27
	v_add_nc_u32_e32 v51, v46, v34
	s_delay_alu instid0(VALU_DEP_4)
	v_lshrrev_b16 v67, 13, v36
	v_ashrrev_i32_e32 v34, 31, v33
	v_lshlrev_b64 v[31:32], 2, v[31:32]
	v_add_co_ci_u32_e32 v28, vcc_lo, v13, v28, vcc_lo
	v_mad_u64_u32 v[36:37], null, v51, s6, v[35:36]
	v_mul_lo_u16 v37, v67, 34
	v_add_nc_u32_e32 v56, v51, v40
	v_add_co_u32 v29, vcc_lo, v12, v29
	v_lshlrev_b64 v[33:34], 2, v[33:34]
	s_delay_alu instid0(VALU_DEP_4) | instskip(NEXT) | instid1(VALU_DEP_4)
	v_sub_nc_u16 v38, v38, v37
	v_mad_u64_u32 v[39:40], null, v56, s6, v[19:20]
	v_add_nc_u32_e32 v69, v56, v41
	v_ashrrev_i32_e32 v37, 31, v36
	s_delay_alu instid0(VALU_DEP_4) | instskip(SKIP_1) | instid1(VALU_DEP_4)
	v_and_b32_e32 v38, 0xff, v38
	v_add_co_ci_u32_e32 v30, vcc_lo, v13, v30, vcc_lo
	v_mad_u64_u32 v[41:42], null, v69, s6, v[20:21]
	s_delay_alu instid0(VALU_DEP_3) | instskip(SKIP_3) | instid1(VALU_DEP_4)
	v_or_b32_e32 v68, 0x80, v38
	v_and_b32_e32 v42, 0xffff, v67
	v_add_co_u32 v31, vcc_lo, v12, v31
	v_lshlrev_b64 v[36:37], 2, v[36:37]
	v_mul_lo_u16 v40, 0xf1, v68
	s_delay_alu instid0(VALU_DEP_4) | instskip(SKIP_2) | instid1(VALU_DEP_4)
	v_add_nc_u32_e32 v72, v69, v42
	v_add_co_ci_u32_e32 v32, vcc_lo, v13, v32, vcc_lo
	v_add_co_u32 v33, vcc_lo, v12, v33
	v_lshrrev_b16 v70, 13, v40
	v_add_co_ci_u32_e32 v34, vcc_lo, v13, v34, vcc_lo
	v_mad_u64_u32 v[17:18], null, v72, s6, v[38:39]
	s_delay_alu instid0(VALU_DEP_3) | instskip(SKIP_3) | instid1(VALU_DEP_4)
	v_mul_lo_u16 v67, v70, 34
	v_and_b32_e32 v24, 0xffff, v70
	v_add_co_u32 v36, vcc_lo, v12, v36
	v_ashrrev_i32_e32 v40, 31, v39
	v_sub_nc_u16 v67, v68, v67
	s_delay_alu instid0(VALU_DEP_4) | instskip(SKIP_2) | instid1(VALU_DEP_4)
	v_add_nc_u32_e32 v68, v72, v24
	v_add_co_ci_u32_e32 v37, vcc_lo, v13, v37, vcc_lo
	v_ashrrev_i32_e32 v42, 31, v41
	v_and_b32_e32 v24, 0xff, v67
	s_clause 0x5
	global_load_b32 v67, v[22:23], off
	global_load_b32 v70, v[27:28], off
	;; [unrolled: 1-line block ×6, first 2 shown]
	v_lshlrev_b64 v[22:23], 2, v[39:40]
	v_ashrrev_i32_e32 v18, 31, v17
	v_lshlrev_b64 v[29:30], 2, v[41:42]
	s_delay_alu instid0(VALU_DEP_3) | instskip(NEXT) | instid1(VALU_DEP_3)
	v_add_co_u32 v22, vcc_lo, v12, v22
	v_lshlrev_b64 v[17:18], 2, v[17:18]
	v_add_co_ci_u32_e32 v23, vcc_lo, v13, v23, vcc_lo
	s_delay_alu instid0(VALU_DEP_4) | instskip(SKIP_1) | instid1(VALU_DEP_4)
	v_add_co_u32 v29, vcc_lo, v12, v29
	v_add_co_ci_u32_e32 v30, vcc_lo, v13, v30, vcc_lo
	v_add_co_u32 v17, vcc_lo, v12, v17
	v_add_co_ci_u32_e32 v18, vcc_lo, v13, v18, vcc_lo
	s_waitcnt vmcnt(6)
	v_mad_u64_u32 v[27:28], null, v68, s6, v[24:25]
	s_delay_alu instid0(VALU_DEP_1) | instskip(NEXT) | instid1(VALU_DEP_1)
	v_ashrrev_i32_e32 v28, 31, v27
	v_lshlrev_b64 v[27:28], 2, v[27:28]
	s_delay_alu instid0(VALU_DEP_1) | instskip(NEXT) | instid1(VALU_DEP_2)
	v_add_co_u32 v27, vcc_lo, v12, v27
	v_add_co_ci_u32_e32 v28, vcc_lo, v13, v28, vcc_lo
	s_clause 0x3
	global_load_b32 v22, v[22:23], off
	global_load_b32 v23, v[29:30], off
	;; [unrolled: 1-line block ×4, first 2 shown]
	ds_store_b32 v14, v53
	v_lshl_add_u32 v14, v1, 2, 0
	v_mad_u64_u32 v[1:2], null, v50, 34, v[6:7]
	v_mad_u32_u24 v2, v48, 34, v4
	v_mad_u32_u24 v4, v49, 34, v5
	ds_store_b32 v14, v57
	v_lshl_add_u32 v6, v3, 2, 0
	v_lshl_add_u32 v5, v15, 2, 0
	;; [unrolled: 1-line block ×4, first 2 shown]
	v_mad_u64_u32 v[1:2], null, v52, 34, v[7:8]
	v_mad_u64_u32 v[2:3], null, v54, 34, v[8:9]
	v_lshl_add_u32 v15, v4, 2, 0
	v_mad_u64_u32 v[3:4], null, v55, 34, v[9:10]
	ds_store_b32 v5, v58
	ds_store_b32 v6, v59
	;; [unrolled: 1-line block ×5, first 2 shown]
	v_lshl_add_u32 v5, v1, 2, 0
	v_or_b32_e32 v8, 0x80, v24
	v_lshl_add_u32 v6, v2, 2, 0
	v_mad_u64_u32 v[1:2], null, v64, 34, v[10:11]
	v_lshl_add_u32 v7, v3, 2, 0
	v_mad_u64_u32 v[2:3], null, v65, 34, v[11:12]
	ds_store_b32 v5, v63
	ds_store_b32 v6, v71
	ds_store_b32 v7, v25
	v_lshl_add_u32 v6, v2, 2, 0
	s_waitcnt vmcnt(1)
	v_mad_u64_u32 v[3:4], null, v66, 34, v[16:17]
	v_mad_u64_u32 v[4:5], null, v43, 34, v[21:22]
	v_lshl_add_u32 v5, v1, 2, 0
	v_mad_u64_u32 v[1:2], null, v46, 34, v[26:27]
	ds_store_b32 v5, v67
	ds_store_b32 v6, v70
	v_lshl_add_u32 v7, v3, 2, 0
	v_mad_u64_u32 v[2:3], null, v51, 34, v[35:36]
	v_lshl_add_u32 v3, v4, 2, 0
	v_mul_lo_u16 v5, 0xf1, v8
	ds_store_b32 v7, v73
	ds_store_b32 v3, v31
	v_lshl_add_u32 v7, v1, 2, 0
	v_lshl_add_u32 v9, v2, 2, 0
	v_mad_u64_u32 v[1:2], null, v56, 34, v[19:20]
	v_lshrrev_b16 v2, 13, v5
	v_mad_u64_u32 v[3:4], null, v69, 34, v[20:21]
	v_mad_u64_u32 v[4:5], null, v72, 34, v[38:39]
	;; [unrolled: 1-line block ×3, first 2 shown]
	s_delay_alu instid0(VALU_DEP_4)
	v_mul_lo_u16 v6, v2, 34
	v_and_b32_e32 v2, 0xffff, v2
	ds_store_b32 v7, v32
	ds_store_b32 v9, v33
	v_lshl_add_u32 v7, v1, 2, 0
	v_lshl_add_u32 v3, v3, 2, 0
	v_sub_nc_u16 v1, v8, v6
	v_add_nc_u32_e32 v2, v68, v2
	v_lshl_add_u32 v4, v4, 2, 0
	v_lshl_add_u32 v5, v5, 2, 0
	ds_store_b32 v7, v22
	ds_store_b32 v3, v23
	;; [unrolled: 1-line block ×3, first 2 shown]
	s_waitcnt vmcnt(0)
	ds_store_b32 v5, v18
	v_and_b32_e32 v1, 0xff, v1
	v_cmpx_gt_u32_e32 0x80, v2
	s_cbranch_execz .LBB11_2
; %bb.1:
	s_delay_alu instid0(VALU_DEP_2) | instskip(NEXT) | instid1(VALU_DEP_1)
	v_mad_u64_u32 v[3:4], null, v2, s6, v[1:2]
	v_ashrrev_i32_e32 v4, 31, v3
	s_delay_alu instid0(VALU_DEP_1) | instskip(NEXT) | instid1(VALU_DEP_1)
	v_lshlrev_b64 v[3:4], 2, v[3:4]
	v_add_co_u32 v3, vcc_lo, v12, v3
	s_delay_alu instid0(VALU_DEP_2) | instskip(SKIP_2) | instid1(VALU_DEP_1)
	v_add_co_ci_u32_e32 v4, vcc_lo, v13, v4, vcc_lo
	global_load_b32 v5, v[3:4], off
	v_mad_u64_u32 v[3:4], null, v2, 34, v[1:2]
	v_lshl_add_u32 v3, v3, 2, 0
	s_waitcnt vmcnt(0)
	ds_store_b32 v3, v5
.LBB11_2:
	s_or_b32 exec_lo, exec_lo, s2
	s_delay_alu instid0(VALU_DEP_2) | instskip(SKIP_1) | instid1(VALU_DEP_1)
	v_or_b32_e32 v1, 0x80, v1
	s_mov_b32 s2, exec_lo
	v_mul_lo_u16 v3, 0xf1, v1
	s_delay_alu instid0(VALU_DEP_1) | instskip(NEXT) | instid1(VALU_DEP_1)
	v_lshrrev_b16 v3, 13, v3
	v_mul_lo_u16 v4, v3, 34
	v_and_b32_e32 v3, 0xffff, v3
	s_delay_alu instid0(VALU_DEP_2) | instskip(NEXT) | instid1(VALU_DEP_2)
	v_sub_nc_u16 v1, v1, v4
	v_add_nc_u32_e32 v2, v2, v3
	s_delay_alu instid0(VALU_DEP_2) | instskip(NEXT) | instid1(VALU_DEP_2)
	v_and_b32_e32 v1, 0xff, v1
	v_cmpx_gt_u32_e32 0x80, v2
	s_cbranch_execz .LBB11_4
; %bb.3:
	s_delay_alu instid0(VALU_DEP_2) | instskip(NEXT) | instid1(VALU_DEP_1)
	v_mad_u64_u32 v[3:4], null, v2, s6, v[1:2]
	v_ashrrev_i32_e32 v4, 31, v3
	s_delay_alu instid0(VALU_DEP_1) | instskip(NEXT) | instid1(VALU_DEP_1)
	v_lshlrev_b64 v[3:4], 2, v[3:4]
	v_add_co_u32 v3, vcc_lo, v12, v3
	s_delay_alu instid0(VALU_DEP_2) | instskip(SKIP_2) | instid1(VALU_DEP_1)
	v_add_co_ci_u32_e32 v4, vcc_lo, v13, v4, vcc_lo
	global_load_b32 v5, v[3:4], off
	v_mad_u64_u32 v[3:4], null, v2, 34, v[1:2]
	v_lshl_add_u32 v3, v3, 2, 0
	s_waitcnt vmcnt(0)
	ds_store_b32 v3, v5
.LBB11_4:
	s_or_b32 exec_lo, exec_lo, s2
	s_delay_alu instid0(VALU_DEP_2) | instskip(SKIP_1) | instid1(VALU_DEP_1)
	v_or_b32_e32 v1, 0x80, v1
	s_mov_b32 s2, exec_lo
	v_mul_lo_u16 v3, 0xf1, v1
	s_delay_alu instid0(VALU_DEP_1) | instskip(NEXT) | instid1(VALU_DEP_1)
	v_lshrrev_b16 v3, 13, v3
	v_mul_lo_u16 v4, v3, 34
	v_and_b32_e32 v3, 0xffff, v3
	s_delay_alu instid0(VALU_DEP_2) | instskip(NEXT) | instid1(VALU_DEP_2)
	v_sub_nc_u16 v1, v1, v4
	v_add_nc_u32_e32 v2, v2, v3
	s_delay_alu instid0(VALU_DEP_2) | instskip(NEXT) | instid1(VALU_DEP_2)
	;; [unrolled: 31-line block ×6, first 2 shown]
	v_and_b32_e32 v1, 0xff, v1
	v_cmpx_gt_u32_e32 0x80, v2
	s_cbranch_execz .LBB11_14
; %bb.13:
	s_delay_alu instid0(VALU_DEP_2) | instskip(NEXT) | instid1(VALU_DEP_1)
	v_mad_u64_u32 v[3:4], null, v2, s6, v[1:2]
	v_ashrrev_i32_e32 v4, 31, v3
	s_delay_alu instid0(VALU_DEP_1) | instskip(NEXT) | instid1(VALU_DEP_1)
	v_lshlrev_b64 v[3:4], 2, v[3:4]
	v_add_co_u32 v3, vcc_lo, v12, v3
	s_delay_alu instid0(VALU_DEP_2) | instskip(SKIP_2) | instid1(VALU_DEP_1)
	v_add_co_ci_u32_e32 v4, vcc_lo, v13, v4, vcc_lo
	global_load_b32 v5, v[3:4], off
	v_mad_u64_u32 v[3:4], null, v2, 34, v[1:2]
	v_lshl_add_u32 v3, v3, 2, 0
	s_waitcnt vmcnt(0)
	ds_store_b32 v3, v5
.LBB11_14:
	s_or_b32 exec_lo, exec_lo, s2
	s_clause 0x1
	s_load_b128 s[8:11], s[0:1], 0x8
	s_load_b64 s[4:5], s[0:1], 0x28
	s_mov_b32 s2, exec_lo
	v_cmpx_gt_u32_e32 0x380, v0
	s_cbranch_execz .LBB11_35
; %bb.15:
	v_or_b32_e32 v1, 0x80, v1
	s_mov_b32 s3, exec_lo
	s_delay_alu instid0(VALU_DEP_1) | instskip(NEXT) | instid1(VALU_DEP_1)
	v_mul_lo_u16 v3, 0xf1, v1
	v_lshrrev_b16 v3, 13, v3
	s_delay_alu instid0(VALU_DEP_1) | instskip(SKIP_1) | instid1(VALU_DEP_2)
	v_mul_lo_u16 v4, v3, 34
	v_and_b32_e32 v3, 0xffff, v3
	v_sub_nc_u16 v1, v1, v4
	s_delay_alu instid0(VALU_DEP_2) | instskip(NEXT) | instid1(VALU_DEP_2)
	v_add_nc_u32_e32 v2, v2, v3
	v_and_b32_e32 v1, 0xff, v1
	s_delay_alu instid0(VALU_DEP_2)
	v_cmpx_gt_u32_e32 0x80, v2
	s_cbranch_execz .LBB11_17
; %bb.16:
	s_delay_alu instid0(VALU_DEP_2) | instskip(NEXT) | instid1(VALU_DEP_1)
	v_mad_u64_u32 v[3:4], null, v2, s6, v[1:2]
	v_ashrrev_i32_e32 v4, 31, v3
	s_delay_alu instid0(VALU_DEP_1) | instskip(NEXT) | instid1(VALU_DEP_1)
	v_lshlrev_b64 v[3:4], 2, v[3:4]
	v_add_co_u32 v3, vcc_lo, v12, v3
	s_delay_alu instid0(VALU_DEP_2) | instskip(SKIP_2) | instid1(VALU_DEP_1)
	v_add_co_ci_u32_e32 v4, vcc_lo, v13, v4, vcc_lo
	global_load_b32 v5, v[3:4], off
	v_mad_u64_u32 v[3:4], null, v2, 34, v[1:2]
	v_lshl_add_u32 v3, v3, 2, 0
	s_waitcnt vmcnt(0)
	ds_store_b32 v3, v5
.LBB11_17:
	s_or_b32 exec_lo, exec_lo, s3
	v_cmp_gt_u32_e32 vcc_lo, 0x300, v0
	s_and_b32 exec_lo, exec_lo, vcc_lo
	s_cbranch_execz .LBB11_35
; %bb.18:
	v_or_b32_e32 v1, 0x80, v1
	s_mov_b32 s3, exec_lo
	s_delay_alu instid0(VALU_DEP_1) | instskip(NEXT) | instid1(VALU_DEP_1)
	v_mul_lo_u16 v3, 0xf1, v1
	v_lshrrev_b16 v3, 13, v3
	s_delay_alu instid0(VALU_DEP_1) | instskip(SKIP_1) | instid1(VALU_DEP_2)
	v_mul_lo_u16 v4, v3, 34
	v_and_b32_e32 v3, 0xffff, v3
	v_sub_nc_u16 v1, v1, v4
	s_delay_alu instid0(VALU_DEP_2) | instskip(NEXT) | instid1(VALU_DEP_2)
	v_add_nc_u32_e32 v2, v2, v3
	v_and_b32_e32 v1, 0xff, v1
	s_delay_alu instid0(VALU_DEP_2)
	v_cmpx_gt_u32_e32 0x80, v2
	s_cbranch_execz .LBB11_20
; %bb.19:
	s_delay_alu instid0(VALU_DEP_2) | instskip(NEXT) | instid1(VALU_DEP_1)
	v_mad_u64_u32 v[3:4], null, v2, s6, v[1:2]
	v_ashrrev_i32_e32 v4, 31, v3
	s_delay_alu instid0(VALU_DEP_1) | instskip(NEXT) | instid1(VALU_DEP_1)
	v_lshlrev_b64 v[3:4], 2, v[3:4]
	v_add_co_u32 v3, vcc_lo, v12, v3
	s_delay_alu instid0(VALU_DEP_2) | instskip(SKIP_2) | instid1(VALU_DEP_1)
	v_add_co_ci_u32_e32 v4, vcc_lo, v13, v4, vcc_lo
	global_load_b32 v5, v[3:4], off
	v_mad_u64_u32 v[3:4], null, v2, 34, v[1:2]
	v_lshl_add_u32 v3, v3, 2, 0
	s_waitcnt vmcnt(0)
	ds_store_b32 v3, v5
.LBB11_20:
	s_or_b32 exec_lo, exec_lo, s3
	v_cmp_gt_u32_e32 vcc_lo, 0x280, v0
	s_and_b32 exec_lo, exec_lo, vcc_lo
	s_cbranch_execz .LBB11_35
; %bb.21:
	v_or_b32_e32 v1, 0x80, v1
	s_mov_b32 s3, exec_lo
	s_delay_alu instid0(VALU_DEP_1) | instskip(NEXT) | instid1(VALU_DEP_1)
	v_mul_lo_u16 v3, 0xf1, v1
	v_lshrrev_b16 v3, 13, v3
	s_delay_alu instid0(VALU_DEP_1) | instskip(SKIP_1) | instid1(VALU_DEP_2)
	v_mul_lo_u16 v4, v3, 34
	v_and_b32_e32 v3, 0xffff, v3
	v_sub_nc_u16 v1, v1, v4
	s_delay_alu instid0(VALU_DEP_2) | instskip(NEXT) | instid1(VALU_DEP_2)
	v_add_nc_u32_e32 v2, v2, v3
	v_and_b32_e32 v1, 0xff, v1
	s_delay_alu instid0(VALU_DEP_2)
	v_cmpx_gt_u32_e32 0x80, v2
	s_cbranch_execz .LBB11_23
; %bb.22:
	s_delay_alu instid0(VALU_DEP_2) | instskip(NEXT) | instid1(VALU_DEP_1)
	v_mad_u64_u32 v[3:4], null, v2, s6, v[1:2]
	v_ashrrev_i32_e32 v4, 31, v3
	s_delay_alu instid0(VALU_DEP_1) | instskip(NEXT) | instid1(VALU_DEP_1)
	v_lshlrev_b64 v[3:4], 2, v[3:4]
	v_add_co_u32 v3, vcc_lo, v12, v3
	s_delay_alu instid0(VALU_DEP_2) | instskip(SKIP_2) | instid1(VALU_DEP_1)
	v_add_co_ci_u32_e32 v4, vcc_lo, v13, v4, vcc_lo
	global_load_b32 v5, v[3:4], off
	v_mad_u64_u32 v[3:4], null, v2, 34, v[1:2]
	v_lshl_add_u32 v3, v3, 2, 0
	s_waitcnt vmcnt(0)
	ds_store_b32 v3, v5
.LBB11_23:
	s_or_b32 exec_lo, exec_lo, s3
	v_cmp_gt_u32_e32 vcc_lo, 0x200, v0
	s_and_b32 exec_lo, exec_lo, vcc_lo
	s_cbranch_execz .LBB11_35
; %bb.24:
	v_or_b32_e32 v1, 0x80, v1
	s_mov_b32 s3, exec_lo
	s_delay_alu instid0(VALU_DEP_1) | instskip(NEXT) | instid1(VALU_DEP_1)
	v_mul_lo_u16 v3, 0xf1, v1
	v_lshrrev_b16 v3, 13, v3
	s_delay_alu instid0(VALU_DEP_1) | instskip(SKIP_1) | instid1(VALU_DEP_2)
	v_mul_lo_u16 v4, v3, 34
	v_and_b32_e32 v3, 0xffff, v3
	v_sub_nc_u16 v1, v1, v4
	s_delay_alu instid0(VALU_DEP_2) | instskip(NEXT) | instid1(VALU_DEP_2)
	v_add_nc_u32_e32 v2, v2, v3
	v_and_b32_e32 v1, 0xff, v1
	s_delay_alu instid0(VALU_DEP_2)
	v_cmpx_gt_u32_e32 0x80, v2
	s_cbranch_execz .LBB11_26
; %bb.25:
	s_delay_alu instid0(VALU_DEP_2) | instskip(NEXT) | instid1(VALU_DEP_1)
	v_mad_u64_u32 v[3:4], null, v2, s6, v[1:2]
	v_ashrrev_i32_e32 v4, 31, v3
	s_delay_alu instid0(VALU_DEP_1) | instskip(NEXT) | instid1(VALU_DEP_1)
	v_lshlrev_b64 v[3:4], 2, v[3:4]
	v_add_co_u32 v3, vcc_lo, v12, v3
	s_delay_alu instid0(VALU_DEP_2) | instskip(SKIP_2) | instid1(VALU_DEP_1)
	v_add_co_ci_u32_e32 v4, vcc_lo, v13, v4, vcc_lo
	global_load_b32 v5, v[3:4], off
	v_mad_u64_u32 v[3:4], null, v2, 34, v[1:2]
	v_lshl_add_u32 v3, v3, 2, 0
	s_waitcnt vmcnt(0)
	ds_store_b32 v3, v5
.LBB11_26:
	s_or_b32 exec_lo, exec_lo, s3
	v_cmp_gt_u32_e32 vcc_lo, 0x180, v0
	s_and_b32 exec_lo, exec_lo, vcc_lo
	s_cbranch_execz .LBB11_35
; %bb.27:
	v_or_b32_e32 v1, 0x80, v1
	s_mov_b32 s3, exec_lo
	s_delay_alu instid0(VALU_DEP_1) | instskip(NEXT) | instid1(VALU_DEP_1)
	v_mul_lo_u16 v3, 0xf1, v1
	v_lshrrev_b16 v3, 13, v3
	s_delay_alu instid0(VALU_DEP_1) | instskip(SKIP_1) | instid1(VALU_DEP_2)
	v_mul_lo_u16 v4, v3, 34
	v_and_b32_e32 v3, 0xffff, v3
	v_sub_nc_u16 v1, v1, v4
	s_delay_alu instid0(VALU_DEP_2) | instskip(NEXT) | instid1(VALU_DEP_2)
	v_add_nc_u32_e32 v2, v2, v3
	v_and_b32_e32 v1, 0xff, v1
	s_delay_alu instid0(VALU_DEP_2)
	v_cmpx_gt_u32_e32 0x80, v2
	s_cbranch_execz .LBB11_29
; %bb.28:
	s_delay_alu instid0(VALU_DEP_2) | instskip(NEXT) | instid1(VALU_DEP_1)
	v_mad_u64_u32 v[3:4], null, v2, s6, v[1:2]
	v_ashrrev_i32_e32 v4, 31, v3
	s_delay_alu instid0(VALU_DEP_1) | instskip(NEXT) | instid1(VALU_DEP_1)
	v_lshlrev_b64 v[3:4], 2, v[3:4]
	v_add_co_u32 v3, vcc_lo, v12, v3
	s_delay_alu instid0(VALU_DEP_2) | instskip(SKIP_2) | instid1(VALU_DEP_1)
	v_add_co_ci_u32_e32 v4, vcc_lo, v13, v4, vcc_lo
	global_load_b32 v5, v[3:4], off
	v_mad_u64_u32 v[3:4], null, v2, 34, v[1:2]
	v_lshl_add_u32 v3, v3, 2, 0
	s_waitcnt vmcnt(0)
	ds_store_b32 v3, v5
.LBB11_29:
	s_or_b32 exec_lo, exec_lo, s3
	v_cmp_gt_u32_e32 vcc_lo, 0x100, v0
	s_and_b32 exec_lo, exec_lo, vcc_lo
	s_cbranch_execz .LBB11_35
; %bb.30:
	v_or_b32_e32 v1, 0x80, v1
	s_mov_b32 s3, exec_lo
	s_delay_alu instid0(VALU_DEP_1) | instskip(NEXT) | instid1(VALU_DEP_1)
	v_mul_lo_u16 v3, 0xf1, v1
	v_lshrrev_b16 v3, 13, v3
	s_delay_alu instid0(VALU_DEP_1) | instskip(SKIP_1) | instid1(VALU_DEP_2)
	v_mul_lo_u16 v4, v3, 34
	v_and_b32_e32 v3, 0xffff, v3
	v_sub_nc_u16 v1, v1, v4
	s_delay_alu instid0(VALU_DEP_2) | instskip(NEXT) | instid1(VALU_DEP_2)
	v_add_nc_u32_e32 v2, v2, v3
	v_and_b32_e32 v1, 0xff, v1
	s_delay_alu instid0(VALU_DEP_2)
	v_cmpx_gt_u32_e32 0x80, v2
	s_cbranch_execz .LBB11_32
; %bb.31:
	s_delay_alu instid0(VALU_DEP_2) | instskip(NEXT) | instid1(VALU_DEP_1)
	v_mad_u64_u32 v[3:4], null, v2, s6, v[1:2]
	v_ashrrev_i32_e32 v4, 31, v3
	s_delay_alu instid0(VALU_DEP_1) | instskip(NEXT) | instid1(VALU_DEP_1)
	v_lshlrev_b64 v[3:4], 2, v[3:4]
	v_add_co_u32 v3, vcc_lo, v12, v3
	s_delay_alu instid0(VALU_DEP_2) | instskip(SKIP_2) | instid1(VALU_DEP_1)
	v_add_co_ci_u32_e32 v4, vcc_lo, v13, v4, vcc_lo
	global_load_b32 v5, v[3:4], off
	v_mad_u64_u32 v[3:4], null, v2, 34, v[1:2]
	v_lshl_add_u32 v3, v3, 2, 0
	s_waitcnt vmcnt(0)
	ds_store_b32 v3, v5
.LBB11_32:
	s_or_b32 exec_lo, exec_lo, s3
	v_cmp_gt_u32_e32 vcc_lo, 0x80, v0
	s_and_b32 exec_lo, exec_lo, vcc_lo
	s_cbranch_execz .LBB11_35
; %bb.33:
	v_or_b32_e32 v3, 0x80, v1
	s_delay_alu instid0(VALU_DEP_1) | instskip(NEXT) | instid1(VALU_DEP_1)
	v_mul_lo_u16 v1, 0xf1, v3
	v_lshrrev_b16 v4, 13, v1
	s_delay_alu instid0(VALU_DEP_1) | instskip(NEXT) | instid1(VALU_DEP_1)
	v_and_b32_e32 v1, 0xffff, v4
	v_add_nc_u32_e32 v1, v2, v1
	s_delay_alu instid0(VALU_DEP_1)
	v_cmp_gt_u32_e32 vcc_lo, 0x80, v1
	s_and_b32 exec_lo, exec_lo, vcc_lo
	s_cbranch_execz .LBB11_35
; %bb.34:
	v_mul_lo_u16 v2, v4, 34
	s_delay_alu instid0(VALU_DEP_1) | instskip(NEXT) | instid1(VALU_DEP_1)
	v_sub_nc_u16 v2, v3, v2
	v_and_b32_e32 v2, 0xff, v2
	s_delay_alu instid0(VALU_DEP_1) | instskip(NEXT) | instid1(VALU_DEP_1)
	v_mad_u64_u32 v[3:4], null, v1, s6, v[2:3]
	v_ashrrev_i32_e32 v4, 31, v3
	s_delay_alu instid0(VALU_DEP_1) | instskip(NEXT) | instid1(VALU_DEP_1)
	v_lshlrev_b64 v[3:4], 2, v[3:4]
	v_add_co_u32 v3, vcc_lo, v12, v3
	s_delay_alu instid0(VALU_DEP_2) | instskip(SKIP_2) | instid1(VALU_DEP_1)
	v_add_co_ci_u32_e32 v4, vcc_lo, v13, v4, vcc_lo
	global_load_b32 v5, v[3:4], off
	v_mad_u64_u32 v[3:4], null, v1, 34, v[2:3]
	v_lshl_add_u32 v1, v3, 2, 0
	s_waitcnt vmcnt(0)
	ds_store_b32 v1, v5
.LBB11_35:
	s_or_b32 exec_lo, exec_lo, s2
	s_ashr_i32 s2, s7, 31
	s_mul_hi_u32 s3, s16, s7
	s_mul_i32 s2, s16, s2
	s_mul_i32 s6, s17, s7
	s_add_i32 s2, s3, s2
	s_mul_i32 s3, s16, s7
	s_add_i32 s2, s2, s6
	s_waitcnt lgkmcnt(0)
	s_add_u32 s3, s8, s3
	s_addc_u32 s2, s9, s2
	s_ashr_i32 s6, s7, 2
	s_delay_alu instid0(SALU_CYCLE_1)
	v_mul_lo_u32 v1, s6, v0
	s_barrier
	buffer_gl0_inv
	v_lshlrev_b32_e32 v9, 2, v0
	s_cmp_eq_u64 s[10:11], 0
	v_ashrrev_i32_e32 v2, 31, v1
	s_delay_alu instid0(VALU_DEP_1) | instskip(NEXT) | instid1(VALU_DEP_1)
	v_lshlrev_b64 v[1:2], 2, v[1:2]
	v_add_co_u32 v1, vcc_lo, s3, v1
	s_delay_alu instid0(VALU_DEP_2)
	v_add_co_ci_u32_e32 v2, vcc_lo, s2, v2, vcc_lo
	global_load_b96 v[1:3], v[1:2], off
	s_cbranch_scc1 .LBB11_37
; %bb.36:
	s_lshl_b64 s[2:3], s[16:17], 2
	s_delay_alu instid0(SALU_CYCLE_1)
	s_add_u32 s2, s10, s2
	s_addc_u32 s3, s11, s3
	global_load_b32 v8, v9, s[2:3]
	s_branch .LBB11_38
.LBB11_37:
	v_mov_b32_e32 v8, 0
.LBB11_38:
	s_load_b64 s[2:3], s[0:1], 0x40
	s_waitcnt lgkmcnt(0)
	s_sub_u32 s8, s2, s14
	s_subb_u32 s9, s3, s15
	s_delay_alu instid0(SALU_CYCLE_1) | instskip(NEXT) | instid1(VALU_DEP_1)
	v_cmp_lt_i64_e64 s2, s[8:9], 1
	s_and_b32 vcc_lo, exec_lo, s2
	s_cbranch_vccnz .LBB11_46
; %bb.39:
	s_load_b128 s[0:3], s[0:1], 0x30
	s_waitcnt lgkmcnt(0)
	v_cmp_lt_i64_e64 s3, s[8:9], 32
	v_mul_u32_u24_e32 v0, 34, v0
	s_ashr_i32 s6, s1, 31
	s_ashr_i32 s11, s0, 31
	s_mul_hi_u32 s7, s14, s1
	s_mul_hi_u32 s12, s16, s0
	s_mul_i32 s6, s14, s6
	s_mul_i32 s11, s16, s11
	;; [unrolled: 1-line block ×5, first 2 shown]
	s_add_i32 s17, s7, s6
	s_add_i32 s19, s12, s11
	s_ashr_i32 s2, s1, 2
	s_ashr_i32 s15, s18, 31
	s_add_i32 s17, s17, s10
	s_add_i32 s19, s19, s13
	s_and_b32 s3, s3, exec_lo
	s_cselect_b32 s11, s9, 0
	s_cselect_b32 s10, s8, 32
	v_cmp_lt_i64_e64 s8, s[8:9], 4
	v_cmp_gt_i64_e64 s6, s[10:11], 1
	s_ashr_i32 s3, s2, 31
	s_mul_i32 s16, s16, s0
	s_mov_b32 s7, 0
	s_mul_i32 s14, s14, s1
	s_delay_alu instid0(VALU_DEP_1)
	s_and_b32 s0, s6, exec_lo
	s_cselect_b32 s20, s10, 1
	s_and_b32 vcc_lo, exec_lo, s8
	s_mov_b64 s[8:9], 0
	s_cbranch_vccnz .LBB11_43
; %bb.40:
	v_lshl_add_u32 v10, v0, 2, 0
	s_add_u32 s0, s4, s18
	s_addc_u32 s1, s5, s15
	s_add_u32 s0, s0, s14
	s_addc_u32 s1, s1, s17
	ds_load_b32 v7, v10
	s_add_u32 s0, s0, s16
	s_addc_u32 s1, s1, s19
	v_add_co_u32 v4, s0, s0, v9
	s_delay_alu instid0(VALU_DEP_1)
	v_add_co_ci_u32_e64 v5, null, s1, 0, s0
	s_and_b32 s6, s20, 60
	s_mul_hi_i32 s21, s2, 12
	s_mul_i32 s22, s2, 12
	s_lshl_b64 s[0:1], s[2:3], 4
	s_lshl_b64 s[8:9], s[2:3], 3
	;; [unrolled: 1-line block ×3, first 2 shown]
	s_mov_b64 s[12:13], 0
.LBB11_41:                              ; =>This Inner Loop Header: Depth=1
	ds_load_2addr_b32 v[11:12], v10 offset0:1 offset1:2
	s_waitcnt vmcnt(0) lgkmcnt(1)
	v_fma_f32 v19, v1, v7, 0
	ds_load_2addr_b32 v[6:7], v10 offset0:3 offset1:4
	ds_load_b32 v21, v10 offset:20
	v_add_nc_u32_e32 v20, 16, v10
	v_add_co_u32 v13, vcc_lo, v4, s10
	v_add_co_ci_u32_e32 v14, vcc_lo, s11, v5, vcc_lo
	v_add_co_u32 v15, vcc_lo, v4, s8
	v_add_co_ci_u32_e32 v16, vcc_lo, s9, v5, vcc_lo
	;; [unrolled: 2-line block ×3, first 2 shown]
	s_add_u32 s12, s12, 4
	s_addc_u32 s13, s13, 0
	s_waitcnt lgkmcnt(2)
	v_fmac_f32_e32 v19, v2, v11
	v_fma_f32 v11, v1, v11, 0
	v_mov_b32_e32 v10, v20
	v_fma_f32 v20, v1, v12, 0
	s_waitcnt lgkmcnt(1)
	v_fma_f32 v22, v1, v6, 0
	v_fmac_f32_e32 v19, v3, v12
	v_fmac_f32_e32 v11, v2, v12
	s_cmp_lg_u64 s[6:7], s[12:13]
	v_fmac_f32_e32 v20, v2, v6
	s_delay_alu instid0(VALU_DEP_3) | instskip(NEXT) | instid1(VALU_DEP_3)
	v_add_f32_e32 v12, v8, v19
	v_dual_fmac_f32 v22, v2, v7 :: v_dual_fmac_f32 v11, v3, v6
	s_delay_alu instid0(VALU_DEP_3)
	v_fmac_f32_e32 v20, v3, v7
	global_store_b32 v[4:5], v12, off
	s_waitcnt lgkmcnt(0)
	v_fmac_f32_e32 v22, v3, v21
	v_add_co_u32 v4, vcc_lo, v4, s0
	v_add_f32_e32 v6, v8, v11
	v_add_f32_e32 v11, v8, v20
	v_add_co_ci_u32_e32 v5, vcc_lo, s1, v5, vcc_lo
	v_add_f32_e32 v12, v8, v22
	s_clause 0x2
	global_store_b32 v[13:14], v6, off
	global_store_b32 v[15:16], v11, off
	;; [unrolled: 1-line block ×3, first 2 shown]
	s_cbranch_scc1 .LBB11_41
; %bb.42:
	s_mov_b64 s[8:9], s[6:7]
.LBB11_43:
	s_and_b32 s0, s20, 3
	s_mov_b32 s1, 0
	s_delay_alu instid0(SALU_CYCLE_1)
	s_cmp_eq_u64 s[0:1], 0
	s_cbranch_scc1 .LBB11_46
; %bb.44:
	v_add_nc_u32_e32 v0, s8, v0
	s_mul_hi_i32 s7, s8, s2
	s_mul_i32 s6, s8, s2
	s_add_u32 s9, s16, s14
	s_addc_u32 s8, s19, s17
	v_lshl_add_u32 v0, v0, 2, 0
	s_lshl_b64 s[6:7], s[6:7], 2
	s_delay_alu instid0(SALU_CYCLE_1)
	s_add_u32 s6, s9, s6
	s_addc_u32 s7, s8, s7
	ds_load_b32 v4, v0
	s_add_u32 s4, s4, s18
	s_addc_u32 s5, s5, s15
	s_add_u32 s4, s4, s6
	s_addc_u32 s5, s5, s7
	v_add_co_u32 v6, s4, s4, v9
	s_delay_alu instid0(VALU_DEP_1)
	v_add_co_ci_u32_e64 v7, null, s5, 0, s4
	s_lshl_b64 s[2:3], s[2:3], 2
	.p2align	6
.LBB11_45:                              ; =>This Inner Loop Header: Depth=1
	s_waitcnt vmcnt(0) lgkmcnt(0)
	v_fma_f32 v9, v1, v4, 0
	ds_load_2addr_b32 v[4:5], v0 offset0:1 offset1:2
	s_add_u32 s0, s0, -1
	s_addc_u32 s1, s1, -1
	s_delay_alu instid0(SALU_CYCLE_1) | instskip(SKIP_2) | instid1(VALU_DEP_1)
	s_cmp_lg_u64 s[0:1], 0
	s_waitcnt lgkmcnt(0)
	v_fmac_f32_e32 v9, v2, v4
	v_dual_fmac_f32 v9, v3, v5 :: v_dual_add_nc_u32 v0, 4, v0
	s_delay_alu instid0(VALU_DEP_1)
	v_add_f32_e32 v5, v8, v9
	global_store_b32 v[6:7], v5, off
	v_add_co_u32 v6, vcc_lo, v6, s2
	v_add_co_ci_u32_e32 v7, vcc_lo, s3, v7, vcc_lo
	s_cbranch_scc1 .LBB11_45
.LBB11_46:
	s_nop 0
	s_sendmsg sendmsg(MSG_DEALLOC_VGPRS)
	s_endpgm
	.section	.rodata,"a",@progbits
	.p2align	6, 0x0
	.amdhsa_kernel _ZL23ssm_conv_long_token_f32ILb0ELm128ELm3ELl32EEvPKfS1_S1_iiiiPfiiil
		.amdhsa_group_segment_fixed_size 0
		.amdhsa_private_segment_fixed_size 0
		.amdhsa_kernarg_size 72
		.amdhsa_user_sgpr_count 13
		.amdhsa_user_sgpr_dispatch_ptr 0
		.amdhsa_user_sgpr_queue_ptr 0
		.amdhsa_user_sgpr_kernarg_segment_ptr 1
		.amdhsa_user_sgpr_dispatch_id 0
		.amdhsa_user_sgpr_private_segment_size 0
		.amdhsa_wavefront_size32 1
		.amdhsa_uses_dynamic_stack 0
		.amdhsa_enable_private_segment 0
		.amdhsa_system_sgpr_workgroup_id_x 1
		.amdhsa_system_sgpr_workgroup_id_y 1
		.amdhsa_system_sgpr_workgroup_id_z 1
		.amdhsa_system_sgpr_workgroup_info 0
		.amdhsa_system_vgpr_workitem_id 0
		.amdhsa_next_free_vgpr 74
		.amdhsa_next_free_sgpr 23
		.amdhsa_reserve_vcc 1
		.amdhsa_float_round_mode_32 0
		.amdhsa_float_round_mode_16_64 0
		.amdhsa_float_denorm_mode_32 3
		.amdhsa_float_denorm_mode_16_64 3
		.amdhsa_dx10_clamp 1
		.amdhsa_ieee_mode 1
		.amdhsa_fp16_overflow 0
		.amdhsa_workgroup_processor_mode 1
		.amdhsa_memory_ordered 1
		.amdhsa_forward_progress 0
		.amdhsa_shared_vgpr_count 0
		.amdhsa_exception_fp_ieee_invalid_op 0
		.amdhsa_exception_fp_denorm_src 0
		.amdhsa_exception_fp_ieee_div_zero 0
		.amdhsa_exception_fp_ieee_overflow 0
		.amdhsa_exception_fp_ieee_underflow 0
		.amdhsa_exception_fp_ieee_inexact 0
		.amdhsa_exception_int_div_zero 0
	.end_amdhsa_kernel
	.section	.text._ZL23ssm_conv_long_token_f32ILb0ELm128ELm3ELl32EEvPKfS1_S1_iiiiPfiiil,"axG",@progbits,_ZL23ssm_conv_long_token_f32ILb0ELm128ELm3ELl32EEvPKfS1_S1_iiiiPfiiil,comdat
.Lfunc_end11:
	.size	_ZL23ssm_conv_long_token_f32ILb0ELm128ELm3ELl32EEvPKfS1_S1_iiiiPfiiil, .Lfunc_end11-_ZL23ssm_conv_long_token_f32ILb0ELm128ELm3ELl32EEvPKfS1_S1_iiiiPfiiil
                                        ; -- End function
	.section	.AMDGPU.csdata,"",@progbits
; Kernel info:
; codeLenInByte = 6504
; NumSgprs: 25
; NumVgprs: 74
; ScratchSize: 0
; MemoryBound: 0
; FloatMode: 240
; IeeeMode: 1
; LDSByteSize: 0 bytes/workgroup (compile time only)
; SGPRBlocks: 3
; VGPRBlocks: 9
; NumSGPRsForWavesPerEU: 25
; NumVGPRsForWavesPerEU: 74
; Occupancy: 16
; WaveLimiterHint : 0
; COMPUTE_PGM_RSRC2:SCRATCH_EN: 0
; COMPUTE_PGM_RSRC2:USER_SGPR: 13
; COMPUTE_PGM_RSRC2:TRAP_HANDLER: 0
; COMPUTE_PGM_RSRC2:TGID_X_EN: 1
; COMPUTE_PGM_RSRC2:TGID_Y_EN: 1
; COMPUTE_PGM_RSRC2:TGID_Z_EN: 1
; COMPUTE_PGM_RSRC2:TIDIG_COMP_CNT: 0
	.section	.text._ZL12ssm_conv_f32ILb0ELm128ELm4EEvPKfS1_S1_iiiiPfiiil,"axG",@progbits,_ZL12ssm_conv_f32ILb0ELm128ELm4EEvPKfS1_S1_iiiiPfiiil,comdat
	.globl	_ZL12ssm_conv_f32ILb0ELm128ELm4EEvPKfS1_S1_iiiiPfiiil ; -- Begin function _ZL12ssm_conv_f32ILb0ELm128ELm4EEvPKfS1_S1_iiiiPfiiil
	.p2align	8
	.type	_ZL12ssm_conv_f32ILb0ELm128ELm4EEvPKfS1_S1_iiiiPfiiil,@function
_ZL12ssm_conv_f32ILb0ELm128ELm4EEvPKfS1_S1_iiiiPfiiil: ; @_ZL12ssm_conv_f32ILb0ELm128ELm4EEvPKfS1_S1_iiiiPfiiil
; %bb.0:
	s_load_b64 s[4:5], s[0:1], 0x10
	s_mov_b32 s2, s15
	s_ashr_i32 s3, s15, 31
	v_lshlrev_b32_e32 v10, 2, v0
	s_lshl_b64 s[18:19], s[2:3], 7
	s_waitcnt lgkmcnt(0)
	s_cmp_eq_u64 s[4:5], 0
	s_cbranch_scc1 .LBB12_2
; %bb.1:
	s_lshl_b64 s[6:7], s[18:19], 2
	s_delay_alu instid0(SALU_CYCLE_1)
	s_add_u32 s4, s4, s6
	s_addc_u32 s5, s5, s7
	global_load_b32 v12, v10, s[4:5]
	s_load_b64 s[12:13], s[0:1], 0x40
	s_waitcnt lgkmcnt(0)
	v_cmp_lt_i64_e64 s4, s[12:13], 1
	s_delay_alu instid0(VALU_DEP_1)
	s_and_b32 vcc_lo, exec_lo, s4
	s_cbranch_vccz .LBB12_3
	s_branch .LBB12_6
.LBB12_2:
	v_mov_b32_e32 v12, 0
	s_load_b64 s[12:13], s[0:1], 0x40
	s_waitcnt lgkmcnt(0)
	v_cmp_lt_i64_e64 s4, s[12:13], 1
	s_delay_alu instid0(VALU_DEP_1)
	s_and_b32 vcc_lo, exec_lo, s4
	s_cbranch_vccnz .LBB12_6
.LBB12_3:
	s_clause 0x1
	s_load_b128 s[8:11], s[0:1], 0x1c
	s_load_b128 s[4:7], s[0:1], 0x30
	v_alignbit_b32 v1, s3, s2, 25
	s_clause 0x1
	s_load_b64 s[16:17], s[0:1], 0x28
	s_load_b128 s[0:3], s[0:1], 0x0
	s_waitcnt lgkmcnt(0)
	s_ashr_i32 s22, s8, 31
	s_ashr_i32 s11, s10, 31
	s_mul_hi_u32 s23, s18, s8
	s_mul_i32 s22, s18, s22
	s_mul_hi_u32 s20, s18, s10
	s_mul_i32 s7, s14, s9
	s_mul_i32 s24, s19, s8
	;; [unrolled: 1-line block ×4, first 2 shown]
	s_add_i32 s22, s23, s22
	s_ashr_i32 s21, s10, 2
	s_ashr_i32 s6, s7, 31
	;; [unrolled: 1-line block ×3, first 2 shown]
	s_add_i32 s26, s20, s14
	s_add_i32 s20, s22, s24
	s_add_u32 s22, s16, s9
	s_addc_u32 s23, s17, s11
	s_ashr_i32 s14, s4, 31
	s_mul_hi_u32 s25, s18, s4
	s_mul_i32 s24, s18, s14
	s_mul_i32 s19, s19, s4
	;; [unrolled: 1-line block ×3, first 2 shown]
	s_add_i32 s4, s25, s24
	v_mul_lo_u32 v3, v1, s10
	s_add_i32 s19, s4, s19
	s_add_u32 s22, s22, s14
	s_addc_u32 s23, s23, s19
	s_mul_i32 s15, s18, s8
	v_mul_lo_u32 v1, s21, v0
	s_add_u32 s4, s0, s7
	s_addc_u32 s21, s1, s6
	s_add_u32 s4, s4, s15
	s_addc_u32 s21, s21, s20
	s_ashr_i32 s8, s8, 2
	v_add_nc_u32_e32 v4, s26, v3
	v_mul_lo_u32 v0, s8, v0
	v_ashrrev_i32_e32 v2, 31, v1
	s_mul_i32 s8, s18, s10
	s_cmp_eq_u64 s[12:13], 1
	v_add_co_u32 v5, vcc_lo, s2, s8
	s_delay_alu instid0(VALU_DEP_2) | instskip(SKIP_2) | instid1(VALU_DEP_1)
	v_lshlrev_b64 v[2:3], 2, v[1:2]
	v_add_co_ci_u32_e32 v4, vcc_lo, s3, v4, vcc_lo
	v_ashrrev_i32_e32 v1, 31, v0
	v_lshlrev_b64 v[8:9], 2, v[0:1]
	s_delay_alu instid0(VALU_DEP_4) | instskip(NEXT) | instid1(VALU_DEP_4)
	v_add_co_u32 v0, vcc_lo, v5, v2
	v_add_co_ci_u32_e32 v1, vcc_lo, v4, v3, vcc_lo
	s_delay_alu instid0(VALU_DEP_3) | instskip(NEXT) | instid1(VALU_DEP_4)
	v_add_co_u32 v4, vcc_lo, s4, v8
	v_add_co_ci_u32_e32 v5, vcc_lo, s21, v9, vcc_lo
	global_load_b128 v[0:3], v[0:1], off
	global_load_b128 v[4:7], v[4:5], off
	s_waitcnt vmcnt(0)
	v_fma_f32 v11, v0, v4, 0
	s_delay_alu instid0(VALU_DEP_1) | instskip(NEXT) | instid1(VALU_DEP_1)
	v_fmac_f32_e32 v11, v1, v5
	v_fmac_f32_e32 v11, v2, v6
	s_delay_alu instid0(VALU_DEP_1) | instskip(NEXT) | instid1(VALU_DEP_1)
	v_fmac_f32_e32 v11, v3, v7
	v_add_f32_e32 v11, v12, v11
	global_store_b32 v10, v11, s[22:23]
	s_cbranch_scc1 .LBB12_6
; %bb.4:
	s_ashr_i32 s2, s5, 2
	s_delay_alu instid0(SALU_CYCLE_1)
	s_ashr_i32 s3, s2, 31
	s_add_u32 s0, s0, s7
	s_addc_u32 s1, s1, s6
	s_add_u32 s0, s0, s15
	s_addc_u32 s1, s1, s20
	s_add_u32 s4, s12, -1
	s_addc_u32 s5, s13, -1
	s_lshl_b64 s[6:7], s[2:3], 2
	v_add_co_u32 v8, vcc_lo, s0, v8
	s_add_u32 s0, s14, s6
	v_add_co_ci_u32_e32 v9, vcc_lo, s1, v9, vcc_lo
	s_addc_u32 s1, s19, s7
	s_add_u32 s2, s16, s9
	s_addc_u32 s3, s17, s11
	s_add_u32 s0, s2, s0
	v_add_co_u32 v8, vcc_lo, v8, 16
	s_addc_u32 s1, s3, s1
	v_add_co_u32 v10, s0, s0, v10
	v_add_co_ci_u32_e32 v9, vcc_lo, 0, v9, vcc_lo
	v_add_co_ci_u32_e64 v11, null, s1, 0, s0
	s_mov_b64 s[10:11], 0
.LBB12_5:                               ; =>This Inner Loop Header: Depth=1
	global_load_b32 v13, v[8:9], off
	s_add_u32 s8, s10, 1
	s_addc_u32 s9, s11, 0
	s_add_i32 s0, s10, 4
	v_add_co_u32 v8, vcc_lo, v8, 4
	s_and_b32 s2, s0, 3
	v_add_co_ci_u32_e32 v9, vcc_lo, 0, v9, vcc_lo
	s_cmp_eq_u32 s2, 3
	s_cselect_b32 vcc_lo, -1, 0
	s_cmp_eq_u32 s2, 2
	s_cselect_b32 s0, -1, 0
	s_cmp_eq_u32 s2, 1
	s_cselect_b32 s1, -1, 0
	s_cmp_eq_u32 s2, 0
	s_cselect_b32 s2, -1, 0
	s_and_b32 s3, s8, 3
	s_delay_alu instid0(SALU_CYCLE_1)
	s_cmp_eq_u32 s3, 1
	s_waitcnt vmcnt(0)
	v_cndmask_b32_e64 v5, v5, v13, s1
	v_cndmask_b32_e64 v4, v4, v13, s2
	;; [unrolled: 1-line block ×3, first 2 shown]
	v_cndmask_b32_e32 v7, v7, v13, vcc_lo
	s_cselect_b32 vcc_lo, -1, 0
	s_cmp_eq_u32 s3, 2
	v_cndmask_b32_e32 v14, v4, v5, vcc_lo
	s_cselect_b32 vcc_lo, -1, 0
	s_cmp_eq_u32 s3, 3
	s_delay_alu instid0(VALU_DEP_1)
	v_cndmask_b32_e32 v14, v14, v6, vcc_lo
	s_cselect_b32 vcc_lo, -1, 0
	s_add_i32 s0, s10, 2
	s_mov_b64 s[10:11], s[8:9]
	s_and_b32 s0, s0, 3
	v_cndmask_b32_e32 v14, v14, v7, vcc_lo
	s_cmp_eq_u32 s0, 1
	s_cselect_b32 vcc_lo, -1, 0
	s_cmp_eq_u32 s0, 2
	v_cndmask_b32_e32 v15, v4, v5, vcc_lo
	s_cselect_b32 vcc_lo, -1, 0
	s_cmp_eq_u32 s0, 3
	v_fma_f32 v14, v0, v14, 0
	s_delay_alu instid0(VALU_DEP_2) | instskip(SKIP_2) | instid1(SALU_CYCLE_1)
	v_cndmask_b32_e32 v15, v15, v6, vcc_lo
	s_cselect_b32 vcc_lo, -1, 0
	s_xor_b32 s1, s3, 2
	s_cmp_eq_u32 s1, 1
	s_cselect_b32 s0, -1, 0
	s_cmp_eq_u32 s1, 2
	v_cndmask_b32_e64 v16, v4, v5, s0
	v_cndmask_b32_e32 v15, v15, v7, vcc_lo
	s_cselect_b32 vcc_lo, -1, 0
	s_cmp_eq_u32 s1, 3
	s_delay_alu instid0(VALU_DEP_2) | instskip(SKIP_3) | instid1(VALU_DEP_2)
	v_cndmask_b32_e32 v16, v16, v6, vcc_lo
	s_cselect_b32 vcc_lo, -1, 0
	v_fmac_f32_e32 v14, v1, v15
	s_cmp_eq_u64 s[4:5], s[8:9]
	v_cndmask_b32_e32 v15, v16, v7, vcc_lo
	s_delay_alu instid0(VALU_DEP_1) | instskip(NEXT) | instid1(VALU_DEP_1)
	v_fmac_f32_e32 v14, v2, v15
	v_fmac_f32_e32 v14, v3, v13
	s_delay_alu instid0(VALU_DEP_1)
	v_add_f32_e32 v13, v12, v14
	global_store_b32 v[10:11], v13, off
	v_add_co_u32 v10, vcc_lo, v10, s6
	v_add_co_ci_u32_e32 v11, vcc_lo, s7, v11, vcc_lo
	s_cbranch_scc0 .LBB12_5
.LBB12_6:
	s_nop 0
	s_sendmsg sendmsg(MSG_DEALLOC_VGPRS)
	s_endpgm
	.section	.rodata,"a",@progbits
	.p2align	6, 0x0
	.amdhsa_kernel _ZL12ssm_conv_f32ILb0ELm128ELm4EEvPKfS1_S1_iiiiPfiiil
		.amdhsa_group_segment_fixed_size 0
		.amdhsa_private_segment_fixed_size 0
		.amdhsa_kernarg_size 72
		.amdhsa_user_sgpr_count 14
		.amdhsa_user_sgpr_dispatch_ptr 0
		.amdhsa_user_sgpr_queue_ptr 0
		.amdhsa_user_sgpr_kernarg_segment_ptr 1
		.amdhsa_user_sgpr_dispatch_id 0
		.amdhsa_user_sgpr_private_segment_size 0
		.amdhsa_wavefront_size32 1
		.amdhsa_uses_dynamic_stack 0
		.amdhsa_enable_private_segment 0
		.amdhsa_system_sgpr_workgroup_id_x 1
		.amdhsa_system_sgpr_workgroup_id_y 1
		.amdhsa_system_sgpr_workgroup_id_z 0
		.amdhsa_system_sgpr_workgroup_info 0
		.amdhsa_system_vgpr_workitem_id 0
		.amdhsa_next_free_vgpr 17
		.amdhsa_next_free_sgpr 27
		.amdhsa_reserve_vcc 1
		.amdhsa_float_round_mode_32 0
		.amdhsa_float_round_mode_16_64 0
		.amdhsa_float_denorm_mode_32 3
		.amdhsa_float_denorm_mode_16_64 3
		.amdhsa_dx10_clamp 1
		.amdhsa_ieee_mode 1
		.amdhsa_fp16_overflow 0
		.amdhsa_workgroup_processor_mode 1
		.amdhsa_memory_ordered 1
		.amdhsa_forward_progress 0
		.amdhsa_shared_vgpr_count 0
		.amdhsa_exception_fp_ieee_invalid_op 0
		.amdhsa_exception_fp_denorm_src 0
		.amdhsa_exception_fp_ieee_div_zero 0
		.amdhsa_exception_fp_ieee_overflow 0
		.amdhsa_exception_fp_ieee_underflow 0
		.amdhsa_exception_fp_ieee_inexact 0
		.amdhsa_exception_int_div_zero 0
	.end_amdhsa_kernel
	.section	.text._ZL12ssm_conv_f32ILb0ELm128ELm4EEvPKfS1_S1_iiiiPfiiil,"axG",@progbits,_ZL12ssm_conv_f32ILb0ELm128ELm4EEvPKfS1_S1_iiiiPfiiil,comdat
.Lfunc_end12:
	.size	_ZL12ssm_conv_f32ILb0ELm128ELm4EEvPKfS1_S1_iiiiPfiiil, .Lfunc_end12-_ZL12ssm_conv_f32ILb0ELm128ELm4EEvPKfS1_S1_iiiiPfiiil
                                        ; -- End function
	.section	.AMDGPU.csdata,"",@progbits
; Kernel info:
; codeLenInByte = 912
; NumSgprs: 29
; NumVgprs: 17
; ScratchSize: 0
; MemoryBound: 0
; FloatMode: 240
; IeeeMode: 1
; LDSByteSize: 0 bytes/workgroup (compile time only)
; SGPRBlocks: 3
; VGPRBlocks: 2
; NumSGPRsForWavesPerEU: 29
; NumVGPRsForWavesPerEU: 17
; Occupancy: 16
; WaveLimiterHint : 0
; COMPUTE_PGM_RSRC2:SCRATCH_EN: 0
; COMPUTE_PGM_RSRC2:USER_SGPR: 14
; COMPUTE_PGM_RSRC2:TRAP_HANDLER: 0
; COMPUTE_PGM_RSRC2:TGID_X_EN: 1
; COMPUTE_PGM_RSRC2:TGID_Y_EN: 1
; COMPUTE_PGM_RSRC2:TGID_Z_EN: 0
; COMPUTE_PGM_RSRC2:TIDIG_COMP_CNT: 0
	.section	.text._ZL23ssm_conv_long_token_f32ILb0ELm128ELm4ELl32EEvPKfS1_S1_iiiiPfiiil,"axG",@progbits,_ZL23ssm_conv_long_token_f32ILb0ELm128ELm4ELl32EEvPKfS1_S1_iiiiPfiiil,comdat
	.globl	_ZL23ssm_conv_long_token_f32ILb0ELm128ELm4ELl32EEvPKfS1_S1_iiiiPfiiil ; -- Begin function _ZL23ssm_conv_long_token_f32ILb0ELm128ELm4ELl32EEvPKfS1_S1_iiiiPfiiil
	.p2align	8
	.type	_ZL23ssm_conv_long_token_f32ILb0ELm128ELm4ELl32EEvPKfS1_S1_iiiiPfiiil,@function
_ZL23ssm_conv_long_token_f32ILb0ELm128ELm4ELl32EEvPKfS1_S1_iiiiPfiiil: ; @_ZL23ssm_conv_long_token_f32ILb0ELm128ELm4ELl32EEvPKfS1_S1_iiiiPfiiil
; %bb.0:
	v_mul_u32_u24_e32 v1, 0x751, v0
	s_clause 0x1
	s_load_b128 s[4:7], s[0:1], 0x18
	s_load_b64 s[8:9], s[0:1], 0x0
	s_mov_b32 s2, s15
	v_lshrrev_b32_e32 v14, 16, v1
	s_delay_alu instid0(VALU_DEP_1) | instskip(NEXT) | instid1(VALU_DEP_1)
	v_mul_lo_u16 v1, v14, 35
	v_sub_nc_u16 v12, v0, v1
	s_delay_alu instid0(VALU_DEP_1) | instskip(SKIP_2) | instid1(SALU_CYCLE_1)
	v_or_b32_e32 v1, 0x80, v12
	s_waitcnt lgkmcnt(0)
	s_mul_i32 s3, s13, s6
	s_ashr_i32 s6, s3, 31
	s_add_u32 s8, s8, s3
	v_mul_lo_u16 v2, 0xeb, v1
	s_addc_u32 s9, s9, s6
	s_ashr_i32 s6, s5, 2
	s_ashr_i32 s15, s14, 31
	;; [unrolled: 1-line block ×3, first 2 shown]
	v_lshrrev_b16 v17, 13, v2
	v_alignbit_b32 v18, s15, s14, 25
	s_ashr_i32 s3, s2, 31
	s_lshl_b64 s[16:17], s[14:15], 7
	s_lshl_b64 s[14:15], s[2:3], 5
	v_mul_lo_u16 v2, v17, 35
	v_mul_lo_u32 v18, v18, s5
	v_alignbit_b32 v20, s3, s2, 27
	s_mul_i32 s2, s16, s10
	s_mul_hi_u32 s3, s16, s5
	v_sub_nc_u16 v1, v1, v2
	s_add_i32 s3, s3, s2
	v_and_b32_e32 v22, 0xffff, v17
	v_mul_lo_u32 v20, v20, s4
	v_add_nc_u32_e32 v23, s3, v18
	v_and_b32_e32 v1, 0xff, v1
	s_ashr_i32 s11, s4, 31
	v_add_nc_u32_e32 v44, v14, v22
	s_mul_i32 s10, s16, s5
	s_mul_i32 s11, s14, s11
	v_or_b32_e32 v2, 0x80, v1
	s_mul_hi_u32 s12, s14, s4
	v_add_co_u32 v22, vcc_lo, s8, s10
	s_add_i32 s12, s12, s11
	s_delay_alu instid0(VALU_DEP_2) | instskip(SKIP_3) | instid1(VALU_DEP_3)
	v_mul_lo_u16 v3, 0xeb, v2
	v_add_nc_u32_e32 v28, s12, v20
	v_add_co_ci_u32_e32 v23, vcc_lo, s9, v23, vcc_lo
	s_mul_i32 s5, s14, s4
	v_lshrrev_b16 v19, 13, v3
	s_mov_b32 s2, exec_lo
	s_delay_alu instid0(VALU_DEP_1) | instskip(NEXT) | instid1(VALU_DEP_1)
	v_mul_lo_u16 v3, v19, 35
	v_sub_nc_u16 v2, v2, v3
	s_delay_alu instid0(VALU_DEP_1) | instskip(NEXT) | instid1(VALU_DEP_1)
	v_and_b32_e32 v2, 0xff, v2
	v_or_b32_e32 v3, 0x80, v2
	s_delay_alu instid0(VALU_DEP_1) | instskip(NEXT) | instid1(VALU_DEP_1)
	v_mul_lo_u16 v4, 0xeb, v3
	v_lshrrev_b16 v24, 13, v4
	s_delay_alu instid0(VALU_DEP_1) | instskip(NEXT) | instid1(VALU_DEP_1)
	v_mul_lo_u16 v4, v24, 35
	v_sub_nc_u16 v3, v3, v4
	s_delay_alu instid0(VALU_DEP_1) | instskip(NEXT) | instid1(VALU_DEP_1)
	v_and_b32_e32 v3, 0xff, v3
	v_or_b32_e32 v4, 0x80, v3
	s_delay_alu instid0(VALU_DEP_1) | instskip(NEXT) | instid1(VALU_DEP_1)
	v_mul_lo_u16 v5, 0xeb, v4
	v_lshrrev_b16 v25, 13, v5
	;; [unrolled: 9-line block ×3, first 2 shown]
	s_delay_alu instid0(VALU_DEP_1) | instskip(SKIP_1) | instid1(VALU_DEP_2)
	v_mul_lo_u16 v6, v26, 35
	v_and_b32_e32 v26, 0xffff, v26
	v_sub_nc_u16 v5, v5, v6
	s_delay_alu instid0(VALU_DEP_1) | instskip(NEXT) | instid1(VALU_DEP_1)
	v_and_b32_e32 v5, 0xff, v5
	v_or_b32_e32 v6, 0x80, v5
	s_delay_alu instid0(VALU_DEP_1) | instskip(NEXT) | instid1(VALU_DEP_1)
	v_mul_lo_u16 v7, 0xeb, v6
	v_lshrrev_b16 v31, 13, v7
	s_delay_alu instid0(VALU_DEP_1) | instskip(NEXT) | instid1(VALU_DEP_1)
	v_mul_lo_u16 v7, v31, 35
	v_sub_nc_u16 v6, v6, v7
	s_delay_alu instid0(VALU_DEP_1) | instskip(NEXT) | instid1(VALU_DEP_1)
	v_and_b32_e32 v6, 0xff, v6
	v_or_b32_e32 v7, 0x80, v6
	s_delay_alu instid0(VALU_DEP_1) | instskip(NEXT) | instid1(VALU_DEP_1)
	v_mul_lo_u16 v8, 0xeb, v7
	v_lshrrev_b16 v33, 13, v8
	s_delay_alu instid0(VALU_DEP_1) | instskip(NEXT) | instid1(VALU_DEP_1)
	v_mul_lo_u16 v8, v33, 35
	v_sub_nc_u16 v7, v7, v8
	s_delay_alu instid0(VALU_DEP_1) | instskip(NEXT) | instid1(VALU_DEP_1)
	v_and_b32_e32 v7, 0xff, v7
	v_or_b32_e32 v8, 0x80, v7
	s_delay_alu instid0(VALU_DEP_1) | instskip(NEXT) | instid1(VALU_DEP_1)
	v_mul_lo_u16 v9, 0xeb, v8
	v_lshrrev_b16 v36, 13, v9
	s_delay_alu instid0(VALU_DEP_1) | instskip(SKIP_1) | instid1(VALU_DEP_2)
	v_mul_lo_u16 v9, v36, 35
	v_and_b32_e32 v36, 0xffff, v36
	v_sub_nc_u16 v8, v8, v9
	s_delay_alu instid0(VALU_DEP_1) | instskip(NEXT) | instid1(VALU_DEP_1)
	v_and_b32_e32 v8, 0xff, v8
	v_or_b32_e32 v9, 0x80, v8
	s_delay_alu instid0(VALU_DEP_1) | instskip(NEXT) | instid1(VALU_DEP_1)
	v_mul_lo_u16 v10, 0xeb, v9
	v_lshrrev_b16 v37, 13, v10
	s_delay_alu instid0(VALU_DEP_1) | instskip(NEXT) | instid1(VALU_DEP_1)
	v_mul_lo_u16 v10, v37, 35
	v_sub_nc_u16 v9, v9, v10
	s_delay_alu instid0(VALU_DEP_1) | instskip(NEXT) | instid1(VALU_DEP_1)
	v_and_b32_e32 v9, 0xff, v9
	v_or_b32_e32 v10, 0x80, v9
	s_delay_alu instid0(VALU_DEP_1) | instskip(NEXT) | instid1(VALU_DEP_1)
	v_mul_lo_u16 v11, 0xeb, v10
	v_lshrrev_b16 v40, 13, v11
	s_delay_alu instid0(VALU_DEP_1) | instskip(NEXT) | instid1(VALU_DEP_1)
	v_mul_lo_u16 v11, v40, 35
	;; [unrolled: 9-line block ×3, first 2 shown]
	v_sub_nc_u16 v11, v11, v13
	s_delay_alu instid0(VALU_DEP_1) | instskip(NEXT) | instid1(VALU_DEP_1)
	v_and_b32_e32 v11, 0xff, v11
	v_or_b32_e32 v13, 0x80, v11
	s_delay_alu instid0(VALU_DEP_1) | instskip(NEXT) | instid1(VALU_DEP_1)
	v_mul_lo_u16 v15, 0xeb, v13
	v_lshrrev_b16 v42, 13, v15
	v_and_b32_e32 v15, 0xffff, v12
	s_delay_alu instid0(VALU_DEP_2) | instskip(NEXT) | instid1(VALU_DEP_1)
	v_mul_lo_u16 v12, v42, 35
	v_sub_nc_u16 v12, v13, v12
	s_delay_alu instid0(VALU_DEP_1) | instskip(NEXT) | instid1(VALU_DEP_1)
	v_and_b32_e32 v16, 0xff, v12
	v_or_b32_e32 v21, 0x80, v16
	v_mad_u64_u32 v[12:13], null, s6, v14, v[15:16]
	v_mad_u32_u24 v14, v14, 35, v15
	s_delay_alu instid0(VALU_DEP_3) | instskip(NEXT) | instid1(VALU_DEP_2)
	v_mul_lo_u16 v13, 0xeb, v21
	v_lshl_add_u32 v14, v14, 2, 0
	s_delay_alu instid0(VALU_DEP_2) | instskip(SKIP_1) | instid1(VALU_DEP_2)
	v_lshrrev_b16 v43, 13, v13
	v_ashrrev_i32_e32 v13, 31, v12
	v_mul_lo_u16 v27, v43, 35
	s_delay_alu instid0(VALU_DEP_2) | instskip(SKIP_2) | instid1(VALU_DEP_4)
	v_lshlrev_b64 v[17:18], 2, v[12:13]
	v_and_b32_e32 v12, 0xffff, v19
	v_mad_u64_u32 v[19:20], null, v44, s6, v[1:2]
	v_sub_nc_u16 v13, v21, v27
	v_mad_u32_u24 v1, v44, 35, v1
	s_delay_alu instid0(VALU_DEP_4) | instskip(SKIP_1) | instid1(VALU_DEP_4)
	v_add_nc_u32_e32 v45, v44, v12
	v_add_co_u32 v12, vcc_lo, v22, s5
	v_and_b32_e32 v21, 0xff, v13
	v_add_co_ci_u32_e32 v13, vcc_lo, v23, v28, vcc_lo
	s_delay_alu instid0(VALU_DEP_4) | instskip(NEXT) | instid1(VALU_DEP_3)
	v_mad_u64_u32 v[22:23], null, v45, s6, v[2:3]
	v_or_b32_e32 v27, 0x80, v21
	v_and_b32_e32 v23, 0xffff, v24
	v_and_b32_e32 v28, 0xffff, v25
	v_ashrrev_i32_e32 v20, 31, v19
	v_add_co_u32 v17, vcc_lo, v12, v17
	v_mul_lo_u16 v24, 0xeb, v27
	v_add_nc_u32_e32 v47, v45, v23
	v_ashrrev_i32_e32 v23, 31, v22
	v_lshlrev_b64 v[19:20], 2, v[19:20]
	v_add_co_ci_u32_e32 v18, vcc_lo, v13, v18, vcc_lo
	v_lshrrev_b16 v46, 13, v24
	v_add_nc_u32_e32 v48, v47, v28
	v_mad_u64_u32 v[24:25], null, v47, s6, v[3:4]
	v_lshlrev_b64 v[22:23], 2, v[22:23]
	s_delay_alu instid0(VALU_DEP_4) | instskip(NEXT) | instid1(VALU_DEP_4)
	v_mul_lo_u16 v29, v46, 35
	v_add_nc_u32_e32 v49, v48, v26
	v_add_co_u32 v19, vcc_lo, v12, v19
	v_add_co_ci_u32_e32 v20, vcc_lo, v13, v20, vcc_lo
	s_delay_alu instid0(VALU_DEP_4) | instskip(NEXT) | instid1(VALU_DEP_4)
	v_sub_nc_u16 v27, v27, v29
	v_mad_u64_u32 v[29:30], null, v49, s6, v[5:6]
	v_ashrrev_i32_e32 v25, 31, v24
	v_add_co_u32 v22, vcc_lo, v12, v22
	s_delay_alu instid0(VALU_DEP_4) | instskip(SKIP_3) | instid1(VALU_DEP_4)
	v_and_b32_e32 v26, 0xff, v27
	v_mad_u64_u32 v[27:28], null, v48, s6, v[4:5]
	v_and_b32_e32 v28, 0xffff, v31
	v_lshlrev_b64 v[24:25], 2, v[24:25]
	v_or_b32_e32 v35, 0x80, v26
	v_ashrrev_i32_e32 v30, 31, v29
	v_add_co_ci_u32_e32 v23, vcc_lo, v13, v23, vcc_lo
	v_add_nc_u32_e32 v50, v49, v28
	s_delay_alu instid0(VALU_DEP_4) | instskip(SKIP_2) | instid1(VALU_DEP_4)
	v_mul_lo_u16 v34, 0xeb, v35
	v_ashrrev_i32_e32 v28, 31, v27
	v_add_co_u32 v24, vcc_lo, v12, v24
	v_mad_u64_u32 v[31:32], null, v50, s6, v[6:7]
	v_and_b32_e32 v32, 0xffff, v33
	v_lshrrev_b16 v51, 13, v34
	v_lshlrev_b64 v[27:28], 2, v[27:28]
	v_lshlrev_b64 v[29:30], 2, v[29:30]
	v_add_co_ci_u32_e32 v25, vcc_lo, v13, v25, vcc_lo
	v_add_nc_u32_e32 v52, v50, v32
	v_mul_lo_u16 v38, v51, 35
	v_ashrrev_i32_e32 v32, 31, v31
	v_add_co_u32 v27, vcc_lo, v12, v27
	s_delay_alu instid0(VALU_DEP_4) | instskip(NEXT) | instid1(VALU_DEP_4)
	v_mad_u64_u32 v[33:34], null, v52, s6, v[7:8]
	v_sub_nc_u16 v34, v35, v38
	v_add_nc_u32_e32 v54, v52, v36
	v_and_b32_e32 v38, 0xffff, v37
	v_lshlrev_b64 v[31:32], 2, v[31:32]
	v_add_co_ci_u32_e32 v28, vcc_lo, v13, v28, vcc_lo
	v_and_b32_e32 v35, 0xff, v34
	s_delay_alu instid0(VALU_DEP_4) | instskip(SKIP_2) | instid1(VALU_DEP_4)
	v_add_nc_u32_e32 v55, v54, v38
	v_ashrrev_i32_e32 v34, 31, v33
	v_mad_u64_u32 v[36:37], null, v54, s6, v[8:9]
	v_or_b32_e32 v53, 0x80, v35
	v_add_co_u32 v29, vcc_lo, v12, v29
	s_delay_alu instid0(VALU_DEP_4) | instskip(SKIP_1) | instid1(VALU_DEP_4)
	v_lshlrev_b64 v[33:34], 2, v[33:34]
	v_add_co_ci_u32_e32 v30, vcc_lo, v13, v30, vcc_lo
	v_mul_lo_u16 v39, 0xeb, v53
	v_add_co_u32 v31, vcc_lo, v12, v31
	v_ashrrev_i32_e32 v37, 31, v36
	v_add_co_ci_u32_e32 v32, vcc_lo, v13, v32, vcc_lo
	s_delay_alu instid0(VALU_DEP_4) | instskip(SKIP_3) | instid1(VALU_DEP_4)
	v_lshrrev_b16 v56, 13, v39
	v_mad_u64_u32 v[38:39], null, v55, s6, v[9:10]
	v_and_b32_e32 v39, 0xffff, v40
	v_add_co_u32 v33, vcc_lo, v12, v33
	v_mul_lo_u16 v57, v56, 35
	v_add_co_ci_u32_e32 v34, vcc_lo, v13, v34, vcc_lo
	s_delay_alu instid0(VALU_DEP_4) | instskip(SKIP_1) | instid1(VALU_DEP_4)
	v_add_nc_u32_e32 v64, v55, v39
	v_ashrrev_i32_e32 v39, 31, v38
	v_sub_nc_u16 v40, v53, v57
	s_clause 0x7
	global_load_b32 v53, v[17:18], off
	global_load_b32 v57, v[19:20], off
	global_load_b32 v58, v[22:23], off
	global_load_b32 v59, v[24:25], off
	global_load_b32 v60, v[27:28], off
	global_load_b32 v61, v[29:30], off
	global_load_b32 v62, v[31:32], off
	global_load_b32 v63, v[33:34], off
	v_lshlrev_b64 v[17:18], 2, v[36:37]
	v_and_b32_e32 v20, 0xffff, v41
	v_lshlrev_b64 v[24:25], 2, v[38:39]
	v_and_b32_e32 v19, 0xff, v40
	v_mad_u64_u32 v[22:23], null, v64, s6, v[10:11]
	v_add_co_u32 v17, vcc_lo, v12, v17
	v_add_co_ci_u32_e32 v18, vcc_lo, v13, v18, vcc_lo
	v_add_co_u32 v24, vcc_lo, v12, v24
	v_add_co_ci_u32_e32 v25, vcc_lo, v13, v25, vcc_lo
	s_clause 0x1
	global_load_b32 v71, v[17:18], off
	global_load_b32 v25, v[24:25], off
	v_or_b32_e32 v29, 0x80, v19
	v_add_nc_u32_e32 v65, v64, v20
	v_and_b32_e32 v20, 0xffff, v42
	v_ashrrev_i32_e32 v23, 31, v22
	v_and_b32_e32 v40, 0xffff, v56
	v_mul_lo_u16 v27, 0xeb, v29
	v_mad_u32_u24 v15, v45, 35, v2
	v_add_nc_u32_e32 v66, v65, v20
	v_and_b32_e32 v20, 0xffff, v43
	v_lshlrev_b64 v[22:23], 2, v[22:23]
	v_lshrrev_b16 v39, 13, v27
	v_mad_u64_u32 v[27:28], null, v65, s6, v[11:12]
	s_delay_alu instid0(VALU_DEP_4) | instskip(SKIP_1) | instid1(VALU_DEP_4)
	v_add_nc_u32_e32 v43, v66, v20
	v_mad_u32_u24 v3, v47, 35, v3
	v_mul_lo_u16 v30, v39, 35
	v_and_b32_e32 v41, 0xffff, v39
	s_delay_alu instid0(VALU_DEP_4) | instskip(NEXT) | instid1(VALU_DEP_3)
	v_mad_u64_u32 v[31:32], null, v43, s6, v[21:22]
	v_sub_nc_u16 v20, v29, v30
	v_ashrrev_i32_e32 v28, 31, v27
	v_mad_u64_u32 v[29:30], null, v66, s6, v[16:17]
	v_and_b32_e32 v30, 0xffff, v46
	s_delay_alu instid0(VALU_DEP_4) | instskip(NEXT) | instid1(VALU_DEP_4)
	v_and_b32_e32 v20, 0xff, v20
	v_lshlrev_b64 v[27:28], 2, v[27:28]
	v_ashrrev_i32_e32 v32, 31, v31
	v_add_co_u32 v22, vcc_lo, v12, v22
	v_add_nc_u32_e32 v46, v43, v30
	v_or_b32_e32 v38, 0x80, v20
	v_ashrrev_i32_e32 v30, 31, v29
	v_add_co_ci_u32_e32 v23, vcc_lo, v13, v23, vcc_lo
	s_delay_alu instid0(VALU_DEP_4) | instskip(SKIP_4) | instid1(VALU_DEP_4)
	v_mad_u64_u32 v[33:34], null, v46, s6, v[26:27]
	v_and_b32_e32 v34, 0xffff, v51
	v_mul_lo_u16 v36, 0xeb, v38
	v_lshlrev_b64 v[29:30], 2, v[29:30]
	v_add_co_u32 v27, vcc_lo, v12, v27
	v_add_nc_u32_e32 v51, v46, v34
	s_delay_alu instid0(VALU_DEP_4)
	v_lshrrev_b16 v67, 13, v36
	v_ashrrev_i32_e32 v34, 31, v33
	v_lshlrev_b64 v[31:32], 2, v[31:32]
	v_add_co_ci_u32_e32 v28, vcc_lo, v13, v28, vcc_lo
	v_mad_u64_u32 v[36:37], null, v51, s6, v[35:36]
	v_mul_lo_u16 v37, v67, 35
	v_add_nc_u32_e32 v56, v51, v40
	v_add_co_u32 v29, vcc_lo, v12, v29
	v_lshlrev_b64 v[33:34], 2, v[33:34]
	s_delay_alu instid0(VALU_DEP_4) | instskip(NEXT) | instid1(VALU_DEP_4)
	v_sub_nc_u16 v38, v38, v37
	v_mad_u64_u32 v[39:40], null, v56, s6, v[19:20]
	v_add_nc_u32_e32 v69, v56, v41
	v_ashrrev_i32_e32 v37, 31, v36
	s_delay_alu instid0(VALU_DEP_4) | instskip(SKIP_1) | instid1(VALU_DEP_4)
	v_and_b32_e32 v38, 0xff, v38
	v_add_co_ci_u32_e32 v30, vcc_lo, v13, v30, vcc_lo
	v_mad_u64_u32 v[41:42], null, v69, s6, v[20:21]
	s_delay_alu instid0(VALU_DEP_3) | instskip(SKIP_3) | instid1(VALU_DEP_4)
	v_or_b32_e32 v68, 0x80, v38
	v_and_b32_e32 v42, 0xffff, v67
	v_add_co_u32 v31, vcc_lo, v12, v31
	v_lshlrev_b64 v[36:37], 2, v[36:37]
	v_mul_lo_u16 v40, 0xeb, v68
	s_delay_alu instid0(VALU_DEP_4) | instskip(SKIP_2) | instid1(VALU_DEP_4)
	v_add_nc_u32_e32 v72, v69, v42
	v_add_co_ci_u32_e32 v32, vcc_lo, v13, v32, vcc_lo
	v_add_co_u32 v33, vcc_lo, v12, v33
	v_lshrrev_b16 v70, 13, v40
	v_add_co_ci_u32_e32 v34, vcc_lo, v13, v34, vcc_lo
	v_mad_u64_u32 v[17:18], null, v72, s6, v[38:39]
	s_delay_alu instid0(VALU_DEP_3) | instskip(SKIP_3) | instid1(VALU_DEP_4)
	v_mul_lo_u16 v67, v70, 35
	v_and_b32_e32 v24, 0xffff, v70
	v_add_co_u32 v36, vcc_lo, v12, v36
	v_ashrrev_i32_e32 v40, 31, v39
	v_sub_nc_u16 v67, v68, v67
	s_delay_alu instid0(VALU_DEP_4) | instskip(SKIP_2) | instid1(VALU_DEP_4)
	v_add_nc_u32_e32 v68, v72, v24
	v_add_co_ci_u32_e32 v37, vcc_lo, v13, v37, vcc_lo
	v_ashrrev_i32_e32 v42, 31, v41
	v_and_b32_e32 v24, 0xff, v67
	s_clause 0x5
	global_load_b32 v67, v[22:23], off
	global_load_b32 v70, v[27:28], off
	;; [unrolled: 1-line block ×6, first 2 shown]
	v_lshlrev_b64 v[22:23], 2, v[39:40]
	v_ashrrev_i32_e32 v18, 31, v17
	v_lshlrev_b64 v[29:30], 2, v[41:42]
	s_delay_alu instid0(VALU_DEP_3) | instskip(NEXT) | instid1(VALU_DEP_3)
	v_add_co_u32 v22, vcc_lo, v12, v22
	v_lshlrev_b64 v[17:18], 2, v[17:18]
	v_add_co_ci_u32_e32 v23, vcc_lo, v13, v23, vcc_lo
	s_delay_alu instid0(VALU_DEP_4) | instskip(SKIP_1) | instid1(VALU_DEP_4)
	v_add_co_u32 v29, vcc_lo, v12, v29
	v_add_co_ci_u32_e32 v30, vcc_lo, v13, v30, vcc_lo
	v_add_co_u32 v17, vcc_lo, v12, v17
	v_add_co_ci_u32_e32 v18, vcc_lo, v13, v18, vcc_lo
	s_waitcnt vmcnt(6)
	v_mad_u64_u32 v[27:28], null, v68, s6, v[24:25]
	s_delay_alu instid0(VALU_DEP_1) | instskip(NEXT) | instid1(VALU_DEP_1)
	v_ashrrev_i32_e32 v28, 31, v27
	v_lshlrev_b64 v[27:28], 2, v[27:28]
	s_delay_alu instid0(VALU_DEP_1) | instskip(NEXT) | instid1(VALU_DEP_2)
	v_add_co_u32 v27, vcc_lo, v12, v27
	v_add_co_ci_u32_e32 v28, vcc_lo, v13, v28, vcc_lo
	s_clause 0x3
	global_load_b32 v22, v[22:23], off
	global_load_b32 v23, v[29:30], off
	;; [unrolled: 1-line block ×4, first 2 shown]
	ds_store_b32 v14, v53
	v_lshl_add_u32 v14, v1, 2, 0
	v_mad_u64_u32 v[1:2], null, v50, 35, v[6:7]
	v_mad_u32_u24 v2, v48, 35, v4
	v_mad_u32_u24 v4, v49, 35, v5
	ds_store_b32 v14, v57
	v_lshl_add_u32 v6, v3, 2, 0
	v_lshl_add_u32 v5, v15, 2, 0
	;; [unrolled: 1-line block ×4, first 2 shown]
	v_mad_u64_u32 v[1:2], null, v52, 35, v[7:8]
	v_mad_u64_u32 v[2:3], null, v54, 35, v[8:9]
	v_lshl_add_u32 v15, v4, 2, 0
	v_mad_u64_u32 v[3:4], null, v55, 35, v[9:10]
	ds_store_b32 v5, v58
	ds_store_b32 v6, v59
	;; [unrolled: 1-line block ×5, first 2 shown]
	v_lshl_add_u32 v5, v1, 2, 0
	v_or_b32_e32 v8, 0x80, v24
	v_lshl_add_u32 v6, v2, 2, 0
	v_mad_u64_u32 v[1:2], null, v64, 35, v[10:11]
	v_lshl_add_u32 v7, v3, 2, 0
	v_mad_u64_u32 v[2:3], null, v65, 35, v[11:12]
	ds_store_b32 v5, v63
	ds_store_b32 v6, v71
	;; [unrolled: 1-line block ×3, first 2 shown]
	v_lshl_add_u32 v6, v2, 2, 0
	s_waitcnt vmcnt(1)
	v_mad_u64_u32 v[3:4], null, v66, 35, v[16:17]
	v_mad_u64_u32 v[4:5], null, v43, 35, v[21:22]
	v_lshl_add_u32 v5, v1, 2, 0
	v_mad_u64_u32 v[1:2], null, v46, 35, v[26:27]
	ds_store_b32 v5, v67
	ds_store_b32 v6, v70
	v_lshl_add_u32 v7, v3, 2, 0
	v_mad_u64_u32 v[2:3], null, v51, 35, v[35:36]
	v_lshl_add_u32 v3, v4, 2, 0
	v_mul_lo_u16 v5, 0xeb, v8
	ds_store_b32 v7, v73
	ds_store_b32 v3, v31
	v_lshl_add_u32 v7, v1, 2, 0
	v_lshl_add_u32 v9, v2, 2, 0
	v_mad_u64_u32 v[1:2], null, v56, 35, v[19:20]
	v_lshrrev_b16 v2, 13, v5
	v_mad_u64_u32 v[3:4], null, v69, 35, v[20:21]
	v_mad_u64_u32 v[4:5], null, v72, 35, v[38:39]
	;; [unrolled: 1-line block ×3, first 2 shown]
	s_delay_alu instid0(VALU_DEP_4)
	v_mul_lo_u16 v6, v2, 35
	v_and_b32_e32 v2, 0xffff, v2
	ds_store_b32 v7, v32
	ds_store_b32 v9, v33
	v_lshl_add_u32 v7, v1, 2, 0
	v_lshl_add_u32 v3, v3, 2, 0
	v_sub_nc_u16 v1, v8, v6
	v_add_nc_u32_e32 v2, v68, v2
	v_lshl_add_u32 v4, v4, 2, 0
	v_lshl_add_u32 v5, v5, 2, 0
	ds_store_b32 v7, v22
	ds_store_b32 v3, v23
	;; [unrolled: 1-line block ×3, first 2 shown]
	s_waitcnt vmcnt(0)
	ds_store_b32 v5, v18
	v_and_b32_e32 v1, 0xff, v1
	v_cmpx_gt_u32_e32 0x80, v2
	s_cbranch_execz .LBB13_2
; %bb.1:
	s_delay_alu instid0(VALU_DEP_2) | instskip(NEXT) | instid1(VALU_DEP_1)
	v_mad_u64_u32 v[3:4], null, v2, s6, v[1:2]
	v_ashrrev_i32_e32 v4, 31, v3
	s_delay_alu instid0(VALU_DEP_1) | instskip(NEXT) | instid1(VALU_DEP_1)
	v_lshlrev_b64 v[3:4], 2, v[3:4]
	v_add_co_u32 v3, vcc_lo, v12, v3
	s_delay_alu instid0(VALU_DEP_2) | instskip(SKIP_2) | instid1(VALU_DEP_1)
	v_add_co_ci_u32_e32 v4, vcc_lo, v13, v4, vcc_lo
	global_load_b32 v5, v[3:4], off
	v_mad_u64_u32 v[3:4], null, v2, 35, v[1:2]
	v_lshl_add_u32 v3, v3, 2, 0
	s_waitcnt vmcnt(0)
	ds_store_b32 v3, v5
.LBB13_2:
	s_or_b32 exec_lo, exec_lo, s2
	s_delay_alu instid0(VALU_DEP_2) | instskip(SKIP_1) | instid1(VALU_DEP_1)
	v_or_b32_e32 v1, 0x80, v1
	s_mov_b32 s2, exec_lo
	v_mul_lo_u16 v3, 0xeb, v1
	s_delay_alu instid0(VALU_DEP_1) | instskip(NEXT) | instid1(VALU_DEP_1)
	v_lshrrev_b16 v3, 13, v3
	v_mul_lo_u16 v4, v3, 35
	v_and_b32_e32 v3, 0xffff, v3
	s_delay_alu instid0(VALU_DEP_2) | instskip(NEXT) | instid1(VALU_DEP_2)
	v_sub_nc_u16 v1, v1, v4
	v_add_nc_u32_e32 v2, v2, v3
	s_delay_alu instid0(VALU_DEP_2) | instskip(NEXT) | instid1(VALU_DEP_2)
	v_and_b32_e32 v1, 0xff, v1
	v_cmpx_gt_u32_e32 0x80, v2
	s_cbranch_execz .LBB13_4
; %bb.3:
	s_delay_alu instid0(VALU_DEP_2) | instskip(NEXT) | instid1(VALU_DEP_1)
	v_mad_u64_u32 v[3:4], null, v2, s6, v[1:2]
	v_ashrrev_i32_e32 v4, 31, v3
	s_delay_alu instid0(VALU_DEP_1) | instskip(NEXT) | instid1(VALU_DEP_1)
	v_lshlrev_b64 v[3:4], 2, v[3:4]
	v_add_co_u32 v3, vcc_lo, v12, v3
	s_delay_alu instid0(VALU_DEP_2) | instskip(SKIP_2) | instid1(VALU_DEP_1)
	v_add_co_ci_u32_e32 v4, vcc_lo, v13, v4, vcc_lo
	global_load_b32 v5, v[3:4], off
	v_mad_u64_u32 v[3:4], null, v2, 35, v[1:2]
	v_lshl_add_u32 v3, v3, 2, 0
	s_waitcnt vmcnt(0)
	ds_store_b32 v3, v5
.LBB13_4:
	s_or_b32 exec_lo, exec_lo, s2
	s_delay_alu instid0(VALU_DEP_2) | instskip(SKIP_1) | instid1(VALU_DEP_1)
	v_or_b32_e32 v1, 0x80, v1
	s_mov_b32 s2, exec_lo
	v_mul_lo_u16 v3, 0xeb, v1
	s_delay_alu instid0(VALU_DEP_1) | instskip(NEXT) | instid1(VALU_DEP_1)
	v_lshrrev_b16 v3, 13, v3
	v_mul_lo_u16 v4, v3, 35
	v_and_b32_e32 v3, 0xffff, v3
	s_delay_alu instid0(VALU_DEP_2) | instskip(NEXT) | instid1(VALU_DEP_2)
	v_sub_nc_u16 v1, v1, v4
	v_add_nc_u32_e32 v2, v2, v3
	s_delay_alu instid0(VALU_DEP_2) | instskip(NEXT) | instid1(VALU_DEP_2)
	v_and_b32_e32 v1, 0xff, v1
	v_cmpx_gt_u32_e32 0x80, v2
	s_cbranch_execz .LBB13_6
; %bb.5:
	s_delay_alu instid0(VALU_DEP_2) | instskip(NEXT) | instid1(VALU_DEP_1)
	v_mad_u64_u32 v[3:4], null, v2, s6, v[1:2]
	v_ashrrev_i32_e32 v4, 31, v3
	s_delay_alu instid0(VALU_DEP_1) | instskip(NEXT) | instid1(VALU_DEP_1)
	v_lshlrev_b64 v[3:4], 2, v[3:4]
	v_add_co_u32 v3, vcc_lo, v12, v3
	s_delay_alu instid0(VALU_DEP_2) | instskip(SKIP_2) | instid1(VALU_DEP_1)
	v_add_co_ci_u32_e32 v4, vcc_lo, v13, v4, vcc_lo
	global_load_b32 v5, v[3:4], off
	v_mad_u64_u32 v[3:4], null, v2, 35, v[1:2]
	v_lshl_add_u32 v3, v3, 2, 0
	s_waitcnt vmcnt(0)
	ds_store_b32 v3, v5
.LBB13_6:
	s_or_b32 exec_lo, exec_lo, s2
	s_delay_alu instid0(VALU_DEP_2) | instskip(SKIP_1) | instid1(VALU_DEP_1)
	v_or_b32_e32 v1, 0x80, v1
	s_mov_b32 s2, exec_lo
	v_mul_lo_u16 v3, 0xeb, v1
	s_delay_alu instid0(VALU_DEP_1) | instskip(NEXT) | instid1(VALU_DEP_1)
	v_lshrrev_b16 v3, 13, v3
	v_mul_lo_u16 v4, v3, 35
	v_and_b32_e32 v3, 0xffff, v3
	s_delay_alu instid0(VALU_DEP_2) | instskip(NEXT) | instid1(VALU_DEP_2)
	v_sub_nc_u16 v1, v1, v4
	v_add_nc_u32_e32 v2, v2, v3
	s_delay_alu instid0(VALU_DEP_2) | instskip(NEXT) | instid1(VALU_DEP_2)
	v_and_b32_e32 v1, 0xff, v1
	v_cmpx_gt_u32_e32 0x80, v2
	s_cbranch_execz .LBB13_8
; %bb.7:
	s_delay_alu instid0(VALU_DEP_2) | instskip(NEXT) | instid1(VALU_DEP_1)
	v_mad_u64_u32 v[3:4], null, v2, s6, v[1:2]
	v_ashrrev_i32_e32 v4, 31, v3
	s_delay_alu instid0(VALU_DEP_1) | instskip(NEXT) | instid1(VALU_DEP_1)
	v_lshlrev_b64 v[3:4], 2, v[3:4]
	v_add_co_u32 v3, vcc_lo, v12, v3
	s_delay_alu instid0(VALU_DEP_2) | instskip(SKIP_2) | instid1(VALU_DEP_1)
	v_add_co_ci_u32_e32 v4, vcc_lo, v13, v4, vcc_lo
	global_load_b32 v5, v[3:4], off
	v_mad_u64_u32 v[3:4], null, v2, 35, v[1:2]
	v_lshl_add_u32 v3, v3, 2, 0
	s_waitcnt vmcnt(0)
	ds_store_b32 v3, v5
.LBB13_8:
	s_or_b32 exec_lo, exec_lo, s2
	s_delay_alu instid0(VALU_DEP_2) | instskip(SKIP_1) | instid1(VALU_DEP_1)
	v_or_b32_e32 v1, 0x80, v1
	s_mov_b32 s2, exec_lo
	v_mul_lo_u16 v3, 0xeb, v1
	s_delay_alu instid0(VALU_DEP_1) | instskip(NEXT) | instid1(VALU_DEP_1)
	v_lshrrev_b16 v3, 13, v3
	v_mul_lo_u16 v4, v3, 35
	v_and_b32_e32 v3, 0xffff, v3
	s_delay_alu instid0(VALU_DEP_2) | instskip(NEXT) | instid1(VALU_DEP_2)
	v_sub_nc_u16 v1, v1, v4
	v_add_nc_u32_e32 v2, v2, v3
	s_delay_alu instid0(VALU_DEP_2) | instskip(NEXT) | instid1(VALU_DEP_2)
	v_and_b32_e32 v1, 0xff, v1
	v_cmpx_gt_u32_e32 0x80, v2
	s_cbranch_execz .LBB13_10
; %bb.9:
	s_delay_alu instid0(VALU_DEP_2) | instskip(NEXT) | instid1(VALU_DEP_1)
	v_mad_u64_u32 v[3:4], null, v2, s6, v[1:2]
	v_ashrrev_i32_e32 v4, 31, v3
	s_delay_alu instid0(VALU_DEP_1) | instskip(NEXT) | instid1(VALU_DEP_1)
	v_lshlrev_b64 v[3:4], 2, v[3:4]
	v_add_co_u32 v3, vcc_lo, v12, v3
	s_delay_alu instid0(VALU_DEP_2) | instskip(SKIP_2) | instid1(VALU_DEP_1)
	v_add_co_ci_u32_e32 v4, vcc_lo, v13, v4, vcc_lo
	global_load_b32 v5, v[3:4], off
	v_mad_u64_u32 v[3:4], null, v2, 35, v[1:2]
	v_lshl_add_u32 v3, v3, 2, 0
	s_waitcnt vmcnt(0)
	ds_store_b32 v3, v5
.LBB13_10:
	s_or_b32 exec_lo, exec_lo, s2
	s_delay_alu instid0(VALU_DEP_2) | instskip(SKIP_1) | instid1(VALU_DEP_1)
	v_or_b32_e32 v1, 0x80, v1
	s_mov_b32 s2, exec_lo
	v_mul_lo_u16 v3, 0xeb, v1
	s_delay_alu instid0(VALU_DEP_1) | instskip(NEXT) | instid1(VALU_DEP_1)
	v_lshrrev_b16 v3, 13, v3
	v_mul_lo_u16 v4, v3, 35
	v_and_b32_e32 v3, 0xffff, v3
	s_delay_alu instid0(VALU_DEP_2) | instskip(NEXT) | instid1(VALU_DEP_2)
	v_sub_nc_u16 v1, v1, v4
	v_add_nc_u32_e32 v2, v2, v3
	s_delay_alu instid0(VALU_DEP_2) | instskip(NEXT) | instid1(VALU_DEP_2)
	v_and_b32_e32 v1, 0xff, v1
	v_cmpx_gt_u32_e32 0x80, v2
	s_cbranch_execz .LBB13_12
; %bb.11:
	s_delay_alu instid0(VALU_DEP_2) | instskip(NEXT) | instid1(VALU_DEP_1)
	v_mad_u64_u32 v[3:4], null, v2, s6, v[1:2]
	v_ashrrev_i32_e32 v4, 31, v3
	s_delay_alu instid0(VALU_DEP_1) | instskip(NEXT) | instid1(VALU_DEP_1)
	v_lshlrev_b64 v[3:4], 2, v[3:4]
	v_add_co_u32 v3, vcc_lo, v12, v3
	s_delay_alu instid0(VALU_DEP_2) | instskip(SKIP_2) | instid1(VALU_DEP_1)
	v_add_co_ci_u32_e32 v4, vcc_lo, v13, v4, vcc_lo
	global_load_b32 v5, v[3:4], off
	v_mad_u64_u32 v[3:4], null, v2, 35, v[1:2]
	v_lshl_add_u32 v3, v3, 2, 0
	s_waitcnt vmcnt(0)
	ds_store_b32 v3, v5
.LBB13_12:
	s_or_b32 exec_lo, exec_lo, s2
	s_delay_alu instid0(VALU_DEP_2) | instskip(SKIP_1) | instid1(VALU_DEP_1)
	v_or_b32_e32 v1, 0x80, v1
	s_mov_b32 s2, exec_lo
	v_mul_lo_u16 v3, 0xeb, v1
	s_delay_alu instid0(VALU_DEP_1) | instskip(NEXT) | instid1(VALU_DEP_1)
	v_lshrrev_b16 v3, 13, v3
	v_mul_lo_u16 v4, v3, 35
	v_and_b32_e32 v3, 0xffff, v3
	s_delay_alu instid0(VALU_DEP_2) | instskip(NEXT) | instid1(VALU_DEP_2)
	v_sub_nc_u16 v1, v1, v4
	v_add_nc_u32_e32 v2, v2, v3
	s_delay_alu instid0(VALU_DEP_2) | instskip(NEXT) | instid1(VALU_DEP_2)
	v_and_b32_e32 v1, 0xff, v1
	v_cmpx_gt_u32_e32 0x80, v2
	s_cbranch_execz .LBB13_14
; %bb.13:
	s_delay_alu instid0(VALU_DEP_2) | instskip(NEXT) | instid1(VALU_DEP_1)
	v_mad_u64_u32 v[3:4], null, v2, s6, v[1:2]
	v_ashrrev_i32_e32 v4, 31, v3
	s_delay_alu instid0(VALU_DEP_1) | instskip(NEXT) | instid1(VALU_DEP_1)
	v_lshlrev_b64 v[3:4], 2, v[3:4]
	v_add_co_u32 v3, vcc_lo, v12, v3
	s_delay_alu instid0(VALU_DEP_2) | instskip(SKIP_2) | instid1(VALU_DEP_1)
	v_add_co_ci_u32_e32 v4, vcc_lo, v13, v4, vcc_lo
	global_load_b32 v5, v[3:4], off
	v_mad_u64_u32 v[3:4], null, v2, 35, v[1:2]
	v_lshl_add_u32 v3, v3, 2, 0
	s_waitcnt vmcnt(0)
	ds_store_b32 v3, v5
.LBB13_14:
	s_or_b32 exec_lo, exec_lo, s2
	s_delay_alu instid0(VALU_DEP_2) | instskip(SKIP_1) | instid1(VALU_DEP_1)
	v_or_b32_e32 v1, 0x80, v1
	s_mov_b32 s2, exec_lo
	v_mul_lo_u16 v3, 0xeb, v1
	s_delay_alu instid0(VALU_DEP_1) | instskip(NEXT) | instid1(VALU_DEP_1)
	v_lshrrev_b16 v3, 13, v3
	v_mul_lo_u16 v4, v3, 35
	v_and_b32_e32 v3, 0xffff, v3
	s_delay_alu instid0(VALU_DEP_2) | instskip(NEXT) | instid1(VALU_DEP_2)
	v_sub_nc_u16 v1, v1, v4
	v_add_nc_u32_e32 v2, v2, v3
	s_delay_alu instid0(VALU_DEP_2) | instskip(NEXT) | instid1(VALU_DEP_2)
	v_and_b32_e32 v1, 0xff, v1
	v_cmpx_gt_u32_e32 0x80, v2
	s_cbranch_execz .LBB13_16
; %bb.15:
	s_delay_alu instid0(VALU_DEP_2) | instskip(NEXT) | instid1(VALU_DEP_1)
	v_mad_u64_u32 v[3:4], null, v2, s6, v[1:2]
	v_ashrrev_i32_e32 v4, 31, v3
	s_delay_alu instid0(VALU_DEP_1) | instskip(NEXT) | instid1(VALU_DEP_1)
	v_lshlrev_b64 v[3:4], 2, v[3:4]
	v_add_co_u32 v3, vcc_lo, v12, v3
	s_delay_alu instid0(VALU_DEP_2) | instskip(SKIP_2) | instid1(VALU_DEP_1)
	v_add_co_ci_u32_e32 v4, vcc_lo, v13, v4, vcc_lo
	global_load_b32 v5, v[3:4], off
	v_mad_u64_u32 v[3:4], null, v2, 35, v[1:2]
	v_lshl_add_u32 v3, v3, 2, 0
	s_waitcnt vmcnt(0)
	ds_store_b32 v3, v5
.LBB13_16:
	s_or_b32 exec_lo, exec_lo, s2
	s_clause 0x1
	s_load_b128 s[8:11], s[0:1], 0x8
	s_load_b64 s[4:5], s[0:1], 0x28
	s_mov_b32 s2, exec_lo
	v_cmpx_gt_u32_e32 0x380, v0
	s_cbranch_execz .LBB13_37
; %bb.17:
	v_or_b32_e32 v1, 0x80, v1
	s_mov_b32 s3, exec_lo
	s_delay_alu instid0(VALU_DEP_1) | instskip(NEXT) | instid1(VALU_DEP_1)
	v_mul_lo_u16 v3, 0xeb, v1
	v_lshrrev_b16 v3, 13, v3
	s_delay_alu instid0(VALU_DEP_1) | instskip(SKIP_1) | instid1(VALU_DEP_2)
	v_mul_lo_u16 v4, v3, 35
	v_and_b32_e32 v3, 0xffff, v3
	v_sub_nc_u16 v1, v1, v4
	s_delay_alu instid0(VALU_DEP_2) | instskip(NEXT) | instid1(VALU_DEP_2)
	v_add_nc_u32_e32 v2, v2, v3
	v_and_b32_e32 v1, 0xff, v1
	s_delay_alu instid0(VALU_DEP_2)
	v_cmpx_gt_u32_e32 0x80, v2
	s_cbranch_execz .LBB13_19
; %bb.18:
	s_delay_alu instid0(VALU_DEP_2) | instskip(NEXT) | instid1(VALU_DEP_1)
	v_mad_u64_u32 v[3:4], null, v2, s6, v[1:2]
	v_ashrrev_i32_e32 v4, 31, v3
	s_delay_alu instid0(VALU_DEP_1) | instskip(NEXT) | instid1(VALU_DEP_1)
	v_lshlrev_b64 v[3:4], 2, v[3:4]
	v_add_co_u32 v3, vcc_lo, v12, v3
	s_delay_alu instid0(VALU_DEP_2) | instskip(SKIP_2) | instid1(VALU_DEP_1)
	v_add_co_ci_u32_e32 v4, vcc_lo, v13, v4, vcc_lo
	global_load_b32 v5, v[3:4], off
	v_mad_u64_u32 v[3:4], null, v2, 35, v[1:2]
	v_lshl_add_u32 v3, v3, 2, 0
	s_waitcnt vmcnt(0)
	ds_store_b32 v3, v5
.LBB13_19:
	s_or_b32 exec_lo, exec_lo, s3
	v_cmp_gt_u32_e32 vcc_lo, 0x300, v0
	s_and_b32 exec_lo, exec_lo, vcc_lo
	s_cbranch_execz .LBB13_37
; %bb.20:
	v_or_b32_e32 v1, 0x80, v1
	s_mov_b32 s3, exec_lo
	s_delay_alu instid0(VALU_DEP_1) | instskip(NEXT) | instid1(VALU_DEP_1)
	v_mul_lo_u16 v3, 0xeb, v1
	v_lshrrev_b16 v3, 13, v3
	s_delay_alu instid0(VALU_DEP_1) | instskip(SKIP_1) | instid1(VALU_DEP_2)
	v_mul_lo_u16 v4, v3, 35
	v_and_b32_e32 v3, 0xffff, v3
	v_sub_nc_u16 v1, v1, v4
	s_delay_alu instid0(VALU_DEP_2) | instskip(NEXT) | instid1(VALU_DEP_2)
	v_add_nc_u32_e32 v2, v2, v3
	v_and_b32_e32 v1, 0xff, v1
	s_delay_alu instid0(VALU_DEP_2)
	v_cmpx_gt_u32_e32 0x80, v2
	s_cbranch_execz .LBB13_22
; %bb.21:
	s_delay_alu instid0(VALU_DEP_2) | instskip(NEXT) | instid1(VALU_DEP_1)
	v_mad_u64_u32 v[3:4], null, v2, s6, v[1:2]
	v_ashrrev_i32_e32 v4, 31, v3
	s_delay_alu instid0(VALU_DEP_1) | instskip(NEXT) | instid1(VALU_DEP_1)
	v_lshlrev_b64 v[3:4], 2, v[3:4]
	v_add_co_u32 v3, vcc_lo, v12, v3
	s_delay_alu instid0(VALU_DEP_2) | instskip(SKIP_2) | instid1(VALU_DEP_1)
	v_add_co_ci_u32_e32 v4, vcc_lo, v13, v4, vcc_lo
	global_load_b32 v5, v[3:4], off
	v_mad_u64_u32 v[3:4], null, v2, 35, v[1:2]
	v_lshl_add_u32 v3, v3, 2, 0
	s_waitcnt vmcnt(0)
	ds_store_b32 v3, v5
.LBB13_22:
	s_or_b32 exec_lo, exec_lo, s3
	v_cmp_gt_u32_e32 vcc_lo, 0x280, v0
	s_and_b32 exec_lo, exec_lo, vcc_lo
	;; [unrolled: 35-line block ×6, first 2 shown]
	s_cbranch_execz .LBB13_37
; %bb.35:
	v_or_b32_e32 v3, 0x80, v1
	s_delay_alu instid0(VALU_DEP_1) | instskip(NEXT) | instid1(VALU_DEP_1)
	v_mul_lo_u16 v1, 0xeb, v3
	v_lshrrev_b16 v4, 13, v1
	s_delay_alu instid0(VALU_DEP_1) | instskip(NEXT) | instid1(VALU_DEP_1)
	v_and_b32_e32 v1, 0xffff, v4
	v_add_nc_u32_e32 v1, v2, v1
	s_delay_alu instid0(VALU_DEP_1)
	v_cmp_gt_u32_e32 vcc_lo, 0x80, v1
	s_and_b32 exec_lo, exec_lo, vcc_lo
	s_cbranch_execz .LBB13_37
; %bb.36:
	v_mul_lo_u16 v2, v4, 35
	s_delay_alu instid0(VALU_DEP_1) | instskip(NEXT) | instid1(VALU_DEP_1)
	v_sub_nc_u16 v2, v3, v2
	v_and_b32_e32 v2, 0xff, v2
	s_delay_alu instid0(VALU_DEP_1) | instskip(NEXT) | instid1(VALU_DEP_1)
	v_mad_u64_u32 v[3:4], null, v1, s6, v[2:3]
	v_ashrrev_i32_e32 v4, 31, v3
	s_delay_alu instid0(VALU_DEP_1) | instskip(NEXT) | instid1(VALU_DEP_1)
	v_lshlrev_b64 v[3:4], 2, v[3:4]
	v_add_co_u32 v3, vcc_lo, v12, v3
	s_delay_alu instid0(VALU_DEP_2) | instskip(SKIP_2) | instid1(VALU_DEP_1)
	v_add_co_ci_u32_e32 v4, vcc_lo, v13, v4, vcc_lo
	global_load_b32 v5, v[3:4], off
	v_mad_u64_u32 v[3:4], null, v1, 35, v[2:3]
	v_lshl_add_u32 v1, v3, 2, 0
	s_waitcnt vmcnt(0)
	ds_store_b32 v1, v5
.LBB13_37:
	s_or_b32 exec_lo, exec_lo, s2
	s_ashr_i32 s2, s7, 31
	s_mul_hi_u32 s3, s16, s7
	s_mul_i32 s2, s16, s2
	s_mul_i32 s6, s17, s7
	s_add_i32 s2, s3, s2
	s_mul_i32 s3, s16, s7
	s_add_i32 s2, s2, s6
	s_waitcnt lgkmcnt(0)
	s_add_u32 s3, s8, s3
	s_addc_u32 s2, s9, s2
	s_ashr_i32 s6, s7, 2
	s_delay_alu instid0(SALU_CYCLE_1)
	v_mul_lo_u32 v1, s6, v0
	s_barrier
	buffer_gl0_inv
	v_lshlrev_b32_e32 v10, 2, v0
	s_cmp_eq_u64 s[10:11], 0
	v_ashrrev_i32_e32 v2, 31, v1
	s_delay_alu instid0(VALU_DEP_1) | instskip(NEXT) | instid1(VALU_DEP_1)
	v_lshlrev_b64 v[1:2], 2, v[1:2]
	v_add_co_u32 v1, vcc_lo, s3, v1
	s_delay_alu instid0(VALU_DEP_2)
	v_add_co_ci_u32_e32 v2, vcc_lo, s2, v2, vcc_lo
	global_load_b128 v[1:4], v[1:2], off
	s_cbranch_scc1 .LBB13_39
; %bb.38:
	s_lshl_b64 s[2:3], s[16:17], 2
	s_delay_alu instid0(SALU_CYCLE_1)
	s_add_u32 s2, s10, s2
	s_addc_u32 s3, s11, s3
	global_load_b32 v9, v10, s[2:3]
	s_branch .LBB13_40
.LBB13_39:
	v_mov_b32_e32 v9, 0
.LBB13_40:
	s_load_b64 s[2:3], s[0:1], 0x40
	s_waitcnt lgkmcnt(0)
	s_sub_u32 s8, s2, s14
	s_subb_u32 s9, s3, s15
	s_delay_alu instid0(SALU_CYCLE_1) | instskip(NEXT) | instid1(VALU_DEP_1)
	v_cmp_lt_i64_e64 s2, s[8:9], 1
	s_and_b32 vcc_lo, exec_lo, s2
	s_cbranch_vccnz .LBB13_48
; %bb.41:
	s_load_b128 s[0:3], s[0:1], 0x30
	s_waitcnt lgkmcnt(0)
	v_cmp_lt_i64_e64 s3, s[8:9], 32
	v_mul_u32_u24_e32 v0, 35, v0
	s_ashr_i32 s6, s1, 31
	s_ashr_i32 s11, s0, 31
	s_mul_hi_u32 s7, s14, s1
	s_mul_hi_u32 s12, s16, s0
	s_mul_i32 s6, s14, s6
	s_mul_i32 s11, s16, s11
	;; [unrolled: 1-line block ×5, first 2 shown]
	s_add_i32 s17, s7, s6
	s_add_i32 s19, s12, s11
	s_ashr_i32 s2, s1, 2
	s_ashr_i32 s15, s18, 31
	s_add_i32 s17, s17, s10
	s_add_i32 s19, s19, s13
	s_and_b32 s3, s3, exec_lo
	s_cselect_b32 s11, s9, 0
	s_cselect_b32 s10, s8, 32
	v_cmp_lt_i64_e64 s8, s[8:9], 4
	v_cmp_gt_i64_e64 s6, s[10:11], 1
	s_ashr_i32 s3, s2, 31
	s_mul_i32 s16, s16, s0
	s_mov_b32 s7, 0
	s_mul_i32 s14, s14, s1
	s_delay_alu instid0(VALU_DEP_1)
	s_and_b32 s0, s6, exec_lo
	s_cselect_b32 s20, s10, 1
	s_and_b32 vcc_lo, exec_lo, s8
	s_mov_b64 s[8:9], 0
	s_cbranch_vccnz .LBB13_45
; %bb.42:
	v_lshl_add_u32 v11, v0, 2, 0
	s_add_u32 s0, s4, s18
	s_addc_u32 s1, s5, s15
	s_add_u32 s0, s0, s14
	s_addc_u32 s1, s1, s17
	ds_load_b32 v6, v11
	s_add_u32 s0, s0, s16
	s_addc_u32 s1, s1, s19
	v_add_co_u32 v7, s0, s0, v10
	s_delay_alu instid0(VALU_DEP_1)
	v_add_co_ci_u32_e64 v8, null, s1, 0, s0
	s_and_b32 s6, s20, 60
	s_mul_hi_i32 s21, s2, 12
	s_mul_i32 s22, s2, 12
	s_lshl_b64 s[0:1], s[2:3], 4
	s_lshl_b64 s[8:9], s[2:3], 3
	s_lshl_b64 s[10:11], s[2:3], 2
	s_mov_b64 s[12:13], 0
.LBB13_43:                              ; =>This Inner Loop Header: Depth=1
	ds_load_2addr_b32 v[12:13], v11 offset0:1 offset1:2
	s_waitcnt vmcnt(0) lgkmcnt(1)
	v_fma_f32 v22, v1, v6, 0
	ds_load_2addr_b32 v[5:6], v11 offset0:3 offset1:4
	ds_load_2addr_b32 v[16:17], v11 offset0:5 offset1:6
	v_add_nc_u32_e32 v23, 16, v11
	v_add_co_u32 v14, vcc_lo, v7, s10
	v_add_co_ci_u32_e32 v15, vcc_lo, s11, v8, vcc_lo
	v_add_co_u32 v18, vcc_lo, v7, s8
	v_add_co_ci_u32_e32 v19, vcc_lo, s9, v8, vcc_lo
	;; [unrolled: 2-line block ×3, first 2 shown]
	s_add_u32 s12, s12, 4
	s_addc_u32 s13, s13, 0
	s_waitcnt lgkmcnt(2)
	v_fmac_f32_e32 v22, v2, v12
	v_fma_f32 v12, v1, v12, 0
	v_mov_b32_e32 v11, v23
	s_waitcnt lgkmcnt(1)
	v_fma_f32 v24, v1, v5, 0
	v_fma_f32 v23, v1, v13, 0
	s_cmp_lg_u64 s[6:7], s[12:13]
	v_fmac_f32_e32 v12, v2, v13
	s_delay_alu instid0(VALU_DEP_1) | instskip(NEXT) | instid1(VALU_DEP_1)
	v_fmac_f32_e32 v12, v3, v5
	v_fmac_f32_e32 v12, v4, v6
	;; [unrolled: 1-line block ×3, first 2 shown]
	s_waitcnt lgkmcnt(0)
	s_delay_alu instid0(VALU_DEP_1) | instskip(NEXT) | instid1(VALU_DEP_1)
	v_dual_fmac_f32 v23, v2, v5 :: v_dual_fmac_f32 v24, v3, v16
	v_dual_fmac_f32 v23, v3, v6 :: v_dual_fmac_f32 v24, v4, v17
	s_delay_alu instid0(VALU_DEP_1) | instskip(NEXT) | instid1(VALU_DEP_1)
	v_dual_fmac_f32 v22, v3, v13 :: v_dual_fmac_f32 v23, v4, v16
	v_dual_add_f32 v13, v9, v24 :: v_dual_fmac_f32 v22, v4, v5
	s_delay_alu instid0(VALU_DEP_1)
	v_add_f32_e32 v5, v9, v22
	global_store_b32 v[7:8], v5, off
	v_add_co_u32 v7, vcc_lo, v7, s0
	v_add_f32_e32 v5, v9, v12
	v_add_co_ci_u32_e32 v8, vcc_lo, s1, v8, vcc_lo
	v_add_f32_e32 v12, v9, v23
	s_clause 0x2
	global_store_b32 v[14:15], v5, off
	global_store_b32 v[18:19], v12, off
	;; [unrolled: 1-line block ×3, first 2 shown]
	s_cbranch_scc1 .LBB13_43
; %bb.44:
	s_mov_b64 s[8:9], s[6:7]
.LBB13_45:
	s_and_b32 s0, s20, 3
	s_mov_b32 s1, 0
	s_delay_alu instid0(SALU_CYCLE_1)
	s_cmp_eq_u64 s[0:1], 0
	s_cbranch_scc1 .LBB13_48
; %bb.46:
	v_add_nc_u32_e32 v0, s8, v0
	s_mul_hi_i32 s7, s8, s2
	s_mul_i32 s6, s8, s2
	s_add_u32 s9, s16, s14
	s_addc_u32 s8, s19, s17
	v_lshl_add_u32 v0, v0, 2, 0
	s_lshl_b64 s[6:7], s[6:7], 2
	s_delay_alu instid0(SALU_CYCLE_1)
	s_add_u32 s6, s9, s6
	s_addc_u32 s7, s8, s7
	ds_load_b32 v5, v0
	s_add_u32 s4, s4, s18
	s_addc_u32 s5, s5, s15
	s_add_u32 s4, s4, s6
	s_addc_u32 s5, s5, s7
	v_add_co_u32 v7, s4, s4, v10
	s_delay_alu instid0(VALU_DEP_1)
	v_add_co_ci_u32_e64 v8, null, s5, 0, s4
	s_lshl_b64 s[2:3], s[2:3], 2
	.p2align	6
.LBB13_47:                              ; =>This Inner Loop Header: Depth=1
	s_waitcnt vmcnt(0) lgkmcnt(0)
	v_fma_f32 v10, v1, v5, 0
	ds_load_2addr_b32 v[5:6], v0 offset0:1 offset1:2
	ds_load_b32 v11, v0 offset:12
	v_add_nc_u32_e32 v0, 4, v0
	s_add_u32 s0, s0, -1
	s_addc_u32 s1, s1, -1
	s_delay_alu instid0(SALU_CYCLE_1) | instskip(SKIP_2) | instid1(VALU_DEP_1)
	s_cmp_lg_u64 s[0:1], 0
	s_waitcnt lgkmcnt(1)
	v_fmac_f32_e32 v10, v2, v5
	v_fmac_f32_e32 v10, v3, v6
	s_waitcnt lgkmcnt(0)
	s_delay_alu instid0(VALU_DEP_1) | instskip(NEXT) | instid1(VALU_DEP_1)
	v_fmac_f32_e32 v10, v4, v11
	v_add_f32_e32 v6, v9, v10
	global_store_b32 v[7:8], v6, off
	v_add_co_u32 v7, vcc_lo, v7, s2
	v_add_co_ci_u32_e32 v8, vcc_lo, s3, v8, vcc_lo
	s_cbranch_scc1 .LBB13_47
.LBB13_48:
	s_nop 0
	s_sendmsg sendmsg(MSG_DEALLOC_VGPRS)
	s_endpgm
	.section	.rodata,"a",@progbits
	.p2align	6, 0x0
	.amdhsa_kernel _ZL23ssm_conv_long_token_f32ILb0ELm128ELm4ELl32EEvPKfS1_S1_iiiiPfiiil
		.amdhsa_group_segment_fixed_size 0
		.amdhsa_private_segment_fixed_size 0
		.amdhsa_kernarg_size 72
		.amdhsa_user_sgpr_count 13
		.amdhsa_user_sgpr_dispatch_ptr 0
		.amdhsa_user_sgpr_queue_ptr 0
		.amdhsa_user_sgpr_kernarg_segment_ptr 1
		.amdhsa_user_sgpr_dispatch_id 0
		.amdhsa_user_sgpr_private_segment_size 0
		.amdhsa_wavefront_size32 1
		.amdhsa_uses_dynamic_stack 0
		.amdhsa_enable_private_segment 0
		.amdhsa_system_sgpr_workgroup_id_x 1
		.amdhsa_system_sgpr_workgroup_id_y 1
		.amdhsa_system_sgpr_workgroup_id_z 1
		.amdhsa_system_sgpr_workgroup_info 0
		.amdhsa_system_vgpr_workitem_id 0
		.amdhsa_next_free_vgpr 74
		.amdhsa_next_free_sgpr 23
		.amdhsa_reserve_vcc 1
		.amdhsa_float_round_mode_32 0
		.amdhsa_float_round_mode_16_64 0
		.amdhsa_float_denorm_mode_32 3
		.amdhsa_float_denorm_mode_16_64 3
		.amdhsa_dx10_clamp 1
		.amdhsa_ieee_mode 1
		.amdhsa_fp16_overflow 0
		.amdhsa_workgroup_processor_mode 1
		.amdhsa_memory_ordered 1
		.amdhsa_forward_progress 0
		.amdhsa_shared_vgpr_count 0
		.amdhsa_exception_fp_ieee_invalid_op 0
		.amdhsa_exception_fp_denorm_src 0
		.amdhsa_exception_fp_ieee_div_zero 0
		.amdhsa_exception_fp_ieee_overflow 0
		.amdhsa_exception_fp_ieee_underflow 0
		.amdhsa_exception_fp_ieee_inexact 0
		.amdhsa_exception_int_div_zero 0
	.end_amdhsa_kernel
	.section	.text._ZL23ssm_conv_long_token_f32ILb0ELm128ELm4ELl32EEvPKfS1_S1_iiiiPfiiil,"axG",@progbits,_ZL23ssm_conv_long_token_f32ILb0ELm128ELm4ELl32EEvPKfS1_S1_iiiiPfiiil,comdat
.Lfunc_end13:
	.size	_ZL23ssm_conv_long_token_f32ILb0ELm128ELm4ELl32EEvPKfS1_S1_iiiiPfiiil, .Lfunc_end13-_ZL23ssm_conv_long_token_f32ILb0ELm128ELm4ELl32EEvPKfS1_S1_iiiiPfiiil
                                        ; -- End function
	.section	.AMDGPU.csdata,"",@progbits
; Kernel info:
; codeLenInByte = 6724
; NumSgprs: 25
; NumVgprs: 74
; ScratchSize: 0
; MemoryBound: 0
; FloatMode: 240
; IeeeMode: 1
; LDSByteSize: 0 bytes/workgroup (compile time only)
; SGPRBlocks: 3
; VGPRBlocks: 9
; NumSGPRsForWavesPerEU: 25
; NumVGPRsForWavesPerEU: 74
; Occupancy: 16
; WaveLimiterHint : 0
; COMPUTE_PGM_RSRC2:SCRATCH_EN: 0
; COMPUTE_PGM_RSRC2:USER_SGPR: 13
; COMPUTE_PGM_RSRC2:TRAP_HANDLER: 0
; COMPUTE_PGM_RSRC2:TGID_X_EN: 1
; COMPUTE_PGM_RSRC2:TGID_Y_EN: 1
; COMPUTE_PGM_RSRC2:TGID_Z_EN: 1
; COMPUTE_PGM_RSRC2:TIDIG_COMP_CNT: 0
	.section	.text._ZL12ssm_conv_f32ILb0ELm128ELm5EEvPKfS1_S1_iiiiPfiiil,"axG",@progbits,_ZL12ssm_conv_f32ILb0ELm128ELm5EEvPKfS1_S1_iiiiPfiiil,comdat
	.globl	_ZL12ssm_conv_f32ILb0ELm128ELm5EEvPKfS1_S1_iiiiPfiiil ; -- Begin function _ZL12ssm_conv_f32ILb0ELm128ELm5EEvPKfS1_S1_iiiiPfiiil
	.p2align	8
	.type	_ZL12ssm_conv_f32ILb0ELm128ELm5EEvPKfS1_S1_iiiiPfiiil,@function
_ZL12ssm_conv_f32ILb0ELm128ELm5EEvPKfS1_S1_iiiiPfiiil: ; @_ZL12ssm_conv_f32ILb0ELm128ELm5EEvPKfS1_S1_iiiiPfiiil
; %bb.0:
	s_load_b64 s[4:5], s[0:1], 0x10
	s_mov_b32 s2, s15
	s_ashr_i32 s3, s15, 31
	v_lshlrev_b32_e32 v10, 2, v0
	s_lshl_b64 s[18:19], s[2:3], 7
	s_waitcnt lgkmcnt(0)
	s_cmp_eq_u64 s[4:5], 0
	s_cbranch_scc1 .LBB14_2
; %bb.1:
	s_lshl_b64 s[6:7], s[18:19], 2
	s_delay_alu instid0(SALU_CYCLE_1)
	s_add_u32 s4, s4, s6
	s_addc_u32 s5, s5, s7
	global_load_b32 v12, v10, s[4:5]
	s_load_b64 s[12:13], s[0:1], 0x40
	s_waitcnt lgkmcnt(0)
	v_cmp_lt_i64_e64 s4, s[12:13], 1
	s_delay_alu instid0(VALU_DEP_1)
	s_and_b32 vcc_lo, exec_lo, s4
	s_cbranch_vccz .LBB14_3
	s_branch .LBB14_6
.LBB14_2:
	v_mov_b32_e32 v12, 0
	s_load_b64 s[12:13], s[0:1], 0x40
	s_waitcnt lgkmcnt(0)
	v_cmp_lt_i64_e64 s4, s[12:13], 1
	s_delay_alu instid0(VALU_DEP_1)
	s_and_b32 vcc_lo, exec_lo, s4
	s_cbranch_vccnz .LBB14_6
.LBB14_3:
	s_clause 0x2
	s_load_b128 s[8:11], s[0:1], 0x1c
	s_load_b128 s[4:7], s[0:1], 0x30
	s_load_b64 s[16:17], s[0:1], 0x28
	v_alignbit_b32 v2, s3, s2, 25
	s_load_b128 s[0:3], s[0:1], 0x0
	s_waitcnt lgkmcnt(0)
	s_ashr_i32 s22, s8, 31
	s_ashr_i32 s11, s10, 31
	s_mul_hi_u32 s23, s18, s8
	s_mul_i32 s22, s18, s22
	s_mul_hi_u32 s20, s18, s10
	s_mul_i32 s7, s14, s9
	s_mul_i32 s24, s19, s8
	s_mul_i32 s9, s14, s6
	s_mul_i32 s14, s18, s11
	s_add_i32 s22, s23, s22
	s_ashr_i32 s21, s10, 2
	s_ashr_i32 s6, s7, 31
	s_ashr_i32 s11, s9, 31
	s_add_i32 s25, s20, s14
	s_add_i32 s20, s22, s24
	s_add_u32 s22, s16, s9
	s_addc_u32 s23, s17, s11
	s_ashr_i32 s14, s4, 31
	s_mul_hi_u32 s24, s18, s4
	s_mul_i32 s14, s18, s14
	s_mul_i32 s19, s19, s4
	s_add_i32 s24, s24, s14
	s_mul_i32 s14, s18, s4
	s_add_i32 s19, s24, s19
	s_add_u32 s22, s22, s14
	s_addc_u32 s23, s23, s19
	s_mul_i32 s15, s18, s8
	s_add_u32 s4, s0, s7
	s_addc_u32 s24, s1, s6
	s_add_u32 s4, s4, s15
	s_addc_u32 s24, s24, s20
	s_ashr_i32 s8, s8, 2
	v_mul_lo_u32 v4, v2, s10
	v_mul_lo_u32 v1, s8, v0
	;; [unrolled: 1-line block ×3, first 2 shown]
	s_mul_i32 s8, s18, s10
	s_cmp_eq_u64 s[12:13], 1
	s_delay_alu instid0(VALU_DEP_3) | instskip(NEXT) | instid1(VALU_DEP_3)
	v_add_nc_u32_e32 v0, s25, v4
	v_ashrrev_i32_e32 v2, 31, v1
	s_delay_alu instid0(VALU_DEP_3) | instskip(NEXT) | instid1(VALU_DEP_2)
	v_ashrrev_i32_e32 v4, 31, v3
	v_lshlrev_b64 v[8:9], 2, v[1:2]
	v_add_co_u32 v2, vcc_lo, s2, s8
	v_add_co_ci_u32_e32 v5, vcc_lo, s3, v0, vcc_lo
	s_delay_alu instid0(VALU_DEP_4) | instskip(NEXT) | instid1(VALU_DEP_4)
	v_lshlrev_b64 v[0:1], 2, v[3:4]
	v_add_co_u32 v13, vcc_lo, s4, v8
	v_add_co_ci_u32_e32 v14, vcc_lo, s24, v9, vcc_lo
	s_delay_alu instid0(VALU_DEP_3) | instskip(NEXT) | instid1(VALU_DEP_4)
	v_add_co_u32 v15, vcc_lo, v2, v0
	v_add_co_ci_u32_e32 v16, vcc_lo, v5, v1, vcc_lo
	global_load_b128 v[0:3], v[13:14], off
	global_load_b128 v[4:7], v[15:16], off
	global_load_b32 v13, v[13:14], off offset:16
	global_load_b32 v14, v[15:16], off offset:16
	s_waitcnt vmcnt(2)
	v_fma_f32 v11, v4, v0, 0
	s_delay_alu instid0(VALU_DEP_1) | instskip(NEXT) | instid1(VALU_DEP_1)
	v_fmac_f32_e32 v11, v5, v1
	v_fmac_f32_e32 v11, v6, v2
	s_delay_alu instid0(VALU_DEP_1) | instskip(SKIP_1) | instid1(VALU_DEP_1)
	v_fmac_f32_e32 v11, v7, v3
	s_waitcnt vmcnt(0)
	v_fmac_f32_e32 v11, v14, v13
	s_delay_alu instid0(VALU_DEP_1)
	v_add_f32_e32 v11, v12, v11
	global_store_b32 v10, v11, s[22:23]
	s_cbranch_scc1 .LBB14_6
; %bb.4:
	s_ashr_i32 s2, s5, 2
	s_delay_alu instid0(SALU_CYCLE_1)
	s_ashr_i32 s3, s2, 31
	s_add_u32 s0, s0, s7
	s_addc_u32 s1, s1, s6
	s_add_u32 s0, s0, s15
	s_addc_u32 s1, s1, s20
	s_add_u32 s4, s12, -1
	s_addc_u32 s5, s13, -1
	s_lshl_b64 s[6:7], s[2:3], 2
	v_add_co_u32 v8, vcc_lo, s0, v8
	s_add_u32 s0, s14, s6
	v_add_co_ci_u32_e32 v9, vcc_lo, s1, v9, vcc_lo
	s_addc_u32 s1, s19, s7
	s_add_u32 s2, s16, s9
	s_addc_u32 s3, s17, s11
	s_add_u32 s0, s2, s0
	v_add_co_u32 v8, vcc_lo, v8, 20
	s_addc_u32 s1, s3, s1
	v_add_co_u32 v10, s0, s0, v10
	v_add_co_ci_u32_e32 v9, vcc_lo, 0, v9, vcc_lo
	v_add_co_ci_u32_e64 v11, null, s1, 0, s0
	s_mov_b64 s[8:9], 1
	s_mov_b64 s[10:11], 5
	;; [unrolled: 1-line block ×6, first 2 shown]
.LBB14_5:                               ; =>This Inner Loop Header: Depth=1
	global_load_b32 v15, v[8:9], off
	s_add_u32 s0, 0, 0x3330c000
	s_addc_u32 s1, 0, 0xb3
	s_mul_hi_u32 s3, s0, -5
	s_add_i32 s1, s1, 0x33333280
	s_sub_i32 s3, s3, s0
	s_mul_i32 s22, s1, -5
	s_mul_i32 s2, s0, -5
	s_add_i32 s3, s3, s22
	s_mul_hi_u32 s20, s0, s2
	s_mul_i32 s23, s0, s3
	s_mul_hi_u32 s22, s0, s3
	s_mul_hi_u32 s21, s1, s2
	s_mul_i32 s2, s1, s2
	s_add_u32 s20, s20, s23
	s_addc_u32 s22, 0, s22
	s_mul_hi_u32 s24, s1, s3
	s_add_u32 s2, s20, s2
	s_mul_i32 s3, s1, s3
	s_addc_u32 s2, s22, s21
	s_addc_u32 s20, s24, 0
	s_add_u32 s2, s2, s3
	s_addc_u32 s3, 0, s20
	v_add_co_u32 v16, s0, s0, s2
	s_delay_alu instid0(VALU_DEP_1) | instskip(SKIP_2) | instid1(VALU_DEP_2)
	s_cmp_lg_u32 s0, 0
	v_add_co_u32 v8, vcc_lo, v8, 4
	s_addc_u32 s0, s1, s3
	v_readfirstlane_b32 s1, v16
	s_mul_i32 s3, s8, s0
	s_mul_hi_u32 s2, s8, s0
	s_mul_hi_u32 s20, s9, s0
	s_mul_i32 s21, s9, s0
	s_mul_hi_u32 s42, s8, s1
	s_mul_i32 s44, s9, s1
	s_add_u32 s3, s42, s3
	s_mul_hi_u32 s43, s9, s1
	s_addc_u32 s2, 0, s2
	s_add_u32 s3, s3, s44
	s_addc_u32 s2, s2, s43
	s_addc_u32 s3, s20, 0
	s_add_u32 s2, s2, s21
	s_addc_u32 s3, 0, s3
	s_mul_hi_u32 s20, s2, 5
	s_mul_i32 s2, s2, 5
	s_mul_i32 s3, s3, 5
	v_sub_co_u32 v16, s2, s8, s2
	v_add_co_ci_u32_e32 v9, vcc_lo, 0, v9, vcc_lo
	s_add_i32 s20, s20, s3
	s_delay_alu instid0(VALU_DEP_2)
	v_sub_co_u32 v17, s3, v16, 5
	v_cmp_lt_u32_e32 vcc_lo, 4, v16
	s_cmp_lg_u32 s2, 0
	s_mul_i32 s23, s10, s0
	s_subb_u32 s2, s9, s20
	s_cmp_lg_u32 s3, 0
	v_cndmask_b32_e64 v18, 0, -1, vcc_lo
	v_cmp_lt_u32_e32 vcc_lo, 4, v17
	s_subb_u32 s3, s2, 0
	s_mul_hi_u32 s45, s10, s1
	s_cmp_eq_u32 s3, 0
	s_mul_hi_u32 s22, s10, s0
	v_cndmask_b32_e64 v19, 0, -1, vcc_lo
	s_cselect_b32 vcc_lo, -1, 0
	s_cmp_eq_u32 s2, 0
	v_add_nc_u32_e32 v20, -5, v17
	s_mul_i32 s47, s11, s1
	v_cndmask_b32_e32 v19, -1, v19, vcc_lo
	s_cselect_b32 vcc_lo, -1, 0
	s_add_u32 s2, s45, s23
	s_mul_hi_u32 s46, s11, s1
	s_addc_u32 s3, 0, s22
	s_mul_hi_u32 s24, s11, s0
	s_add_u32 s2, s2, s47
	s_mul_i32 s25, s11, s0
	s_addc_u32 s2, s3, s46
	v_cndmask_b32_e32 v18, -1, v18, vcc_lo
	s_addc_u32 s3, s24, 0
	v_cmp_ne_u32_e32 vcc_lo, 0, v19
	s_add_u32 s2, s2, s25
	s_addc_u32 s3, 0, s3
	s_mul_hi_u32 s20, s2, 5
	s_mul_i32 s2, s2, 5
	v_cndmask_b32_e32 v17, v17, v20, vcc_lo
	v_cmp_ne_u32_e32 vcc_lo, 0, v18
	v_sub_co_u32 v18, s2, s10, s2
	s_mul_i32 s3, s3, 5
	s_mul_i32 s27, s12, s0
	v_cndmask_b32_e32 v16, v16, v17, vcc_lo
	s_add_i32 s20, s20, s3
	v_sub_co_u32 v17, s3, v18, 5
	v_cmp_lt_u32_e32 vcc_lo, 4, v18
	s_cmp_lg_u32 s2, 0
	s_mul_hi_u32 s48, s12, s1
	s_subb_u32 s2, s11, s20
	s_cmp_lg_u32 s3, 0
	v_cndmask_b32_e64 v19, 0, -1, vcc_lo
	v_cmp_lt_u32_e32 vcc_lo, 4, v17
	s_subb_u32 s3, s2, 0
	s_mul_hi_u32 s26, s12, s0
	s_cmp_eq_u32 s3, 0
	s_mul_i32 s50, s13, s1
	v_cndmask_b32_e64 v20, 0, -1, vcc_lo
	s_cselect_b32 vcc_lo, -1, 0
	s_cmp_eq_u32 s2, 0
	v_add_nc_u32_e32 v21, -5, v17
	s_mul_hi_u32 s49, s13, s1
	v_cndmask_b32_e32 v20, -1, v20, vcc_lo
	s_cselect_b32 vcc_lo, -1, 0
	s_add_u32 s2, s48, s27
	s_addc_u32 s3, 0, s26
	s_mul_hi_u32 s28, s13, s0
	s_add_u32 s2, s2, s50
	s_mul_i32 s29, s13, s0
	s_addc_u32 s2, s3, s49
	v_cndmask_b32_e32 v19, -1, v19, vcc_lo
	s_addc_u32 s3, s28, 0
	v_cmp_ne_u32_e32 vcc_lo, 0, v20
	s_add_u32 s2, s2, s29
	s_addc_u32 s3, 0, s3
	s_mul_hi_u32 s20, s2, 5
	s_mul_i32 s2, s2, 5
	v_cndmask_b32_e32 v17, v17, v21, vcc_lo
	v_cmp_ne_u32_e32 vcc_lo, 0, v19
	v_sub_co_u32 v19, s2, s12, s2
	s_mul_i32 s3, s3, 5
	s_mul_i32 s31, s14, s0
	v_cndmask_b32_e32 v17, v18, v17, vcc_lo
	s_add_i32 s20, s20, s3
	v_sub_co_u32 v18, s3, v19, 5
	v_cmp_lt_u32_e32 vcc_lo, 4, v19
	s_cmp_lg_u32 s2, 0
	s_mul_hi_u32 s51, s14, s1
	s_subb_u32 s2, s13, s20
	s_cmp_lg_u32 s3, 0
	v_cndmask_b32_e64 v20, 0, -1, vcc_lo
	v_cmp_lt_u32_e32 vcc_lo, 4, v18
	s_subb_u32 s3, s2, 0
	s_mul_hi_u32 s30, s14, s0
	s_cmp_eq_u32 s3, 0
	v_add_nc_u32_e32 v22, -5, v18
	v_cndmask_b32_e64 v21, 0, -1, vcc_lo
	s_cselect_b32 vcc_lo, -1, 0
	s_cmp_eq_u32 s2, 0
	s_mul_i32 s53, s15, s1
	s_mul_hi_u32 s52, s15, s1
	v_cndmask_b32_e32 v21, -1, v21, vcc_lo
	s_cselect_b32 vcc_lo, -1, 0
	s_add_u32 s2, s51, s31
	s_addc_u32 s3, 0, s30
	s_mul_hi_u32 s33, s15, s0
	s_add_u32 s2, s2, s53
	s_mul_i32 s34, s15, s0
	s_addc_u32 s2, s3, s52
	v_cndmask_b32_e32 v20, -1, v20, vcc_lo
	s_addc_u32 s3, s33, 0
	v_cmp_ne_u32_e32 vcc_lo, 0, v21
	s_add_u32 s2, s2, s34
	s_addc_u32 s3, 0, s3
	s_mul_hi_u32 s20, s2, 5
	s_mul_i32 s2, s2, 5
	v_cndmask_b32_e32 v18, v18, v22, vcc_lo
	v_cmp_ne_u32_e32 vcc_lo, 0, v20
	v_sub_co_u32 v20, s2, s14, s2
	s_mul_i32 s3, s3, 5
	s_mul_i32 s36, s16, s0
	v_cndmask_b32_e32 v18, v19, v18, vcc_lo
	s_add_i32 s20, s20, s3
	v_sub_co_u32 v19, s3, v20, 5
	v_cmp_lt_u32_e32 vcc_lo, 4, v20
	s_cmp_lg_u32 s2, 0
	s_mul_hi_u32 s54, s16, s1
	s_delay_alu instid0(VALU_DEP_2)
	v_add_nc_u32_e32 v23, -5, v19
	s_subb_u32 s2, s15, s20
	v_cndmask_b32_e64 v21, 0, -1, vcc_lo
	v_cmp_lt_u32_e32 vcc_lo, 4, v19
	s_cmp_lg_u32 s3, 0
	s_mul_hi_u32 s35, s16, s0
	s_subb_u32 s3, s2, 0
	s_mul_i32 s56, s17, s1
	v_cndmask_b32_e64 v22, 0, -1, vcc_lo
	s_cmp_eq_u32 s3, 0
	s_mul_hi_u32 s55, s17, s1
	s_cselect_b32 vcc_lo, -1, 0
	s_cmp_eq_u32 s2, 0
	v_cndmask_b32_e32 v22, -1, v22, vcc_lo
	s_cselect_b32 vcc_lo, -1, 0
	s_add_u32 s2, s54, s36
	v_cndmask_b32_e32 v21, -1, v21, vcc_lo
	s_addc_u32 s3, 0, s35
	s_mul_hi_u32 s37, s17, s0
	s_add_u32 s2, s2, s56
	s_mul_i32 s38, s17, s0
	s_addc_u32 s2, s3, s55
	s_addc_u32 s3, s37, 0
	v_cmp_ne_u32_e32 vcc_lo, 0, v22
	s_add_u32 s2, s2, s38
	s_addc_u32 s3, 0, s3
	s_mul_hi_u32 s20, s2, 5
	s_mul_i32 s2, s2, 5
	v_cndmask_b32_e32 v19, v19, v23, vcc_lo
	v_cmp_ne_u32_e32 vcc_lo, 0, v21
	v_sub_co_u32 v21, s2, s16, s2
	s_mul_i32 s3, s3, 5
	s_mul_i32 s40, s18, s0
	v_cndmask_b32_e32 v19, v20, v19, vcc_lo
	s_add_i32 s20, s20, s3
	v_sub_co_u32 v20, s3, v21, 5
	v_cmp_lt_u32_e32 vcc_lo, 4, v21
	s_cmp_lg_u32 s2, 0
	s_mul_hi_u32 s57, s18, s1
	s_subb_u32 s2, s17, s20
	s_cmp_lg_u32 s3, 0
	v_cndmask_b32_e64 v22, 0, -1, vcc_lo
	v_cmp_lt_u32_e32 vcc_lo, 4, v20
	s_subb_u32 s3, s2, 0
	s_mul_hi_u32 s39, s18, s0
	s_cmp_eq_u32 s3, 0
	v_add_nc_u32_e32 v24, -5, v20
	v_cndmask_b32_e64 v23, 0, -1, vcc_lo
	s_cselect_b32 vcc_lo, -1, 0
	s_cmp_eq_u32 s2, 0
	s_mul_hi_u32 s58, s19, s1
	s_mul_i32 s1, s19, s1
	v_cndmask_b32_e32 v23, -1, v23, vcc_lo
	s_cselect_b32 vcc_lo, -1, 0
	s_add_u32 s2, s57, s40
	s_addc_u32 s3, 0, s39
	s_mul_hi_u32 s41, s19, s0
	s_add_u32 s1, s2, s1
	s_mul_i32 s0, s19, s0
	s_addc_u32 s1, s3, s58
	v_cndmask_b32_e32 v22, -1, v22, vcc_lo
	s_addc_u32 s2, s41, 0
	v_cmp_ne_u32_e32 vcc_lo, 0, v23
	s_add_u32 s0, s1, s0
	s_addc_u32 s1, 0, s2
	s_mul_hi_u32 s2, s0, 5
	s_mul_i32 s0, s0, 5
	v_cndmask_b32_e32 v20, v20, v24, vcc_lo
	v_cmp_ne_u32_e32 vcc_lo, 0, v22
	v_sub_co_u32 v22, s0, s18, s0
	s_mul_i32 s1, s1, 5
	s_delay_alu instid0(VALU_DEP_3) | instskip(SKIP_1) | instid1(VALU_DEP_2)
	v_cndmask_b32_e32 v20, v21, v20, vcc_lo
	s_add_i32 s2, s2, s1
	v_sub_co_u32 v21, s1, v22, 5
	v_cmp_lt_u32_e32 vcc_lo, 4, v22
	s_cmp_lg_u32 s0, 0
	s_delay_alu instid0(VALU_DEP_2)
	v_add_nc_u32_e32 v25, -5, v21
	s_subb_u32 s0, s19, s2
	v_cndmask_b32_e64 v23, 0, -1, vcc_lo
	v_cmp_lt_u32_e32 vcc_lo, 4, v21
	s_cmp_lg_u32 s1, 0
	s_subb_u32 s1, s0, 0
	v_cndmask_b32_e64 v24, 0, -1, vcc_lo
	s_cmp_eq_u32 s1, 0
	s_cselect_b32 vcc_lo, -1, 0
	s_cmp_eq_u32 s0, 0
	s_delay_alu instid0(VALU_DEP_1)
	v_cndmask_b32_e32 v24, -1, v24, vcc_lo
	s_cselect_b32 vcc_lo, -1, 0
	s_add_u32 s8, s8, 1
	v_cndmask_b32_e32 v23, -1, v23, vcc_lo
	s_addc_u32 s9, s9, 0
	v_cmp_ne_u32_e32 vcc_lo, 0, v24
	s_add_u32 s10, s10, 1
	s_addc_u32 s11, s11, 0
	s_add_u32 s12, s12, 1
	s_addc_u32 s13, s13, 0
	v_cndmask_b32_e32 v21, v21, v25, vcc_lo
	v_cmp_ne_u32_e32 vcc_lo, 0, v23
	s_add_u32 s14, s14, 1
	s_addc_u32 s15, s15, 0
	s_add_u32 s4, s4, -1
	s_addc_u32 s5, s5, -1
	v_cndmask_b32_e32 v21, v22, v21, vcc_lo
	s_add_u32 s16, s16, 1
	s_addc_u32 s17, s17, 0
	s_add_u32 s18, s18, 1
	s_addc_u32 s19, s19, 0
	v_cmp_eq_u32_e64 s1, 1, v21
	v_cmp_eq_u32_e64 s2, 0, v21
	;; [unrolled: 1-line block ×3, first 2 shown]
	v_cmp_eq_u32_e32 vcc_lo, 3, v21
	v_cmp_eq_u32_e64 s0, 2, v21
	s_cmp_eq_u64 s[4:5], 0
	s_waitcnt vmcnt(0)
	v_cndmask_b32_e64 v13, v13, v15, s3
	v_cndmask_b32_e64 v1, v1, v15, s1
	;; [unrolled: 1-line block ×3, first 2 shown]
	v_cmp_eq_u32_e64 s3, 1, v16
	v_cndmask_b32_e32 v3, v3, v15, vcc_lo
	v_cndmask_b32_e64 v2, v2, v15, s0
	v_cmp_eq_u32_e32 vcc_lo, 1, v20
	v_cmp_eq_u32_e64 s0, 1, v19
	v_cndmask_b32_e64 v15, v0, v1, s3
	v_cmp_eq_u32_e64 s3, 2, v16
	v_cmp_eq_u32_e64 s1, 1, v18
	v_cndmask_b32_e32 v21, v0, v1, vcc_lo
	v_cmp_eq_u32_e32 vcc_lo, 2, v20
	v_cmp_eq_u32_e64 s2, 1, v17
	v_cndmask_b32_e64 v15, v15, v2, s3
	v_cmp_eq_u32_e64 s3, 3, v16
	v_cndmask_b32_e64 v22, v0, v1, s0
	v_cmp_eq_u32_e64 s0, 2, v19
	v_cndmask_b32_e32 v21, v21, v2, vcc_lo
	v_cmp_eq_u32_e32 vcc_lo, 3, v20
	v_cndmask_b32_e64 v15, v15, v3, s3
	v_cmp_eq_u32_e64 s3, 4, v16
	v_cndmask_b32_e64 v23, v0, v1, s1
	v_cmp_eq_u32_e64 s1, 2, v18
	v_cndmask_b32_e64 v24, v0, v1, s2
	v_cmp_eq_u32_e64 s2, 2, v17
	v_cndmask_b32_e64 v22, v22, v2, s0
	v_cmp_eq_u32_e64 s0, 3, v19
	v_cndmask_b32_e32 v21, v21, v3, vcc_lo
	v_cmp_eq_u32_e32 vcc_lo, 4, v20
	v_cndmask_b32_e64 v15, v15, v13, s3
	v_cndmask_b32_e64 v23, v23, v2, s1
	v_cmp_eq_u32_e64 s1, 3, v18
	v_cndmask_b32_e64 v24, v24, v2, s2
	v_cndmask_b32_e32 v16, v21, v13, vcc_lo
	v_cmp_eq_u32_e64 s2, 3, v17
	v_cndmask_b32_e64 v20, v22, v3, s0
	v_cmp_eq_u32_e64 s0, 4, v19
	v_fma_f32 v15, v4, v15, 0
	v_cndmask_b32_e64 v19, v23, v3, s1
	v_cmp_eq_u32_e64 s1, 4, v18
	v_cndmask_b32_e64 v18, v24, v3, s2
	v_cmp_eq_u32_e64 s2, 4, v17
	v_cndmask_b32_e64 v17, v20, v13, s0
	v_fmac_f32_e32 v15, v5, v16
	v_cndmask_b32_e64 v19, v19, v13, s1
	s_delay_alu instid0(VALU_DEP_4) | instskip(NEXT) | instid1(VALU_DEP_3)
	v_cndmask_b32_e64 v18, v18, v13, s2
	v_fmac_f32_e32 v15, v6, v17
	s_delay_alu instid0(VALU_DEP_1) | instskip(NEXT) | instid1(VALU_DEP_1)
	v_fmac_f32_e32 v15, v7, v19
	v_fmac_f32_e32 v15, v14, v18
	s_delay_alu instid0(VALU_DEP_1)
	v_add_f32_e32 v15, v12, v15
	global_store_b32 v[10:11], v15, off
	v_add_co_u32 v10, vcc_lo, v10, s6
	v_add_co_ci_u32_e32 v11, vcc_lo, s7, v11, vcc_lo
	s_cbranch_scc0 .LBB14_5
.LBB14_6:
	s_nop 0
	s_sendmsg sendmsg(MSG_DEALLOC_VGPRS)
	s_endpgm
	.section	.rodata,"a",@progbits
	.p2align	6, 0x0
	.amdhsa_kernel _ZL12ssm_conv_f32ILb0ELm128ELm5EEvPKfS1_S1_iiiiPfiiil
		.amdhsa_group_segment_fixed_size 0
		.amdhsa_private_segment_fixed_size 0
		.amdhsa_kernarg_size 72
		.amdhsa_user_sgpr_count 14
		.amdhsa_user_sgpr_dispatch_ptr 0
		.amdhsa_user_sgpr_queue_ptr 0
		.amdhsa_user_sgpr_kernarg_segment_ptr 1
		.amdhsa_user_sgpr_dispatch_id 0
		.amdhsa_user_sgpr_private_segment_size 0
		.amdhsa_wavefront_size32 1
		.amdhsa_uses_dynamic_stack 0
		.amdhsa_enable_private_segment 0
		.amdhsa_system_sgpr_workgroup_id_x 1
		.amdhsa_system_sgpr_workgroup_id_y 1
		.amdhsa_system_sgpr_workgroup_id_z 0
		.amdhsa_system_sgpr_workgroup_info 0
		.amdhsa_system_vgpr_workitem_id 0
		.amdhsa_next_free_vgpr 26
		.amdhsa_next_free_sgpr 59
		.amdhsa_reserve_vcc 1
		.amdhsa_float_round_mode_32 0
		.amdhsa_float_round_mode_16_64 0
		.amdhsa_float_denorm_mode_32 3
		.amdhsa_float_denorm_mode_16_64 3
		.amdhsa_dx10_clamp 1
		.amdhsa_ieee_mode 1
		.amdhsa_fp16_overflow 0
		.amdhsa_workgroup_processor_mode 1
		.amdhsa_memory_ordered 1
		.amdhsa_forward_progress 0
		.amdhsa_shared_vgpr_count 0
		.amdhsa_exception_fp_ieee_invalid_op 0
		.amdhsa_exception_fp_denorm_src 0
		.amdhsa_exception_fp_ieee_div_zero 0
		.amdhsa_exception_fp_ieee_overflow 0
		.amdhsa_exception_fp_ieee_underflow 0
		.amdhsa_exception_fp_ieee_inexact 0
		.amdhsa_exception_int_div_zero 0
	.end_amdhsa_kernel
	.section	.text._ZL12ssm_conv_f32ILb0ELm128ELm5EEvPKfS1_S1_iiiiPfiiil,"axG",@progbits,_ZL12ssm_conv_f32ILb0ELm128ELm5EEvPKfS1_S1_iiiiPfiiil,comdat
.Lfunc_end14:
	.size	_ZL12ssm_conv_f32ILb0ELm128ELm5EEvPKfS1_S1_iiiiPfiiil, .Lfunc_end14-_ZL12ssm_conv_f32ILb0ELm128ELm5EEvPKfS1_S1_iiiiPfiiil
                                        ; -- End function
	.section	.AMDGPU.csdata,"",@progbits
; Kernel info:
; codeLenInByte = 2336
; NumSgprs: 61
; NumVgprs: 26
; ScratchSize: 0
; MemoryBound: 0
; FloatMode: 240
; IeeeMode: 1
; LDSByteSize: 0 bytes/workgroup (compile time only)
; SGPRBlocks: 7
; VGPRBlocks: 3
; NumSGPRsForWavesPerEU: 61
; NumVGPRsForWavesPerEU: 26
; Occupancy: 16
; WaveLimiterHint : 0
; COMPUTE_PGM_RSRC2:SCRATCH_EN: 0
; COMPUTE_PGM_RSRC2:USER_SGPR: 14
; COMPUTE_PGM_RSRC2:TRAP_HANDLER: 0
; COMPUTE_PGM_RSRC2:TGID_X_EN: 1
; COMPUTE_PGM_RSRC2:TGID_Y_EN: 1
; COMPUTE_PGM_RSRC2:TGID_Z_EN: 0
; COMPUTE_PGM_RSRC2:TIDIG_COMP_CNT: 0
	.section	.text._ZL23ssm_conv_long_token_f32ILb0ELm128ELm5ELl32EEvPKfS1_S1_iiiiPfiiil,"axG",@progbits,_ZL23ssm_conv_long_token_f32ILb0ELm128ELm5ELl32EEvPKfS1_S1_iiiiPfiiil,comdat
	.globl	_ZL23ssm_conv_long_token_f32ILb0ELm128ELm5ELl32EEvPKfS1_S1_iiiiPfiiil ; -- Begin function _ZL23ssm_conv_long_token_f32ILb0ELm128ELm5ELl32EEvPKfS1_S1_iiiiPfiiil
	.p2align	8
	.type	_ZL23ssm_conv_long_token_f32ILb0ELm128ELm5ELl32EEvPKfS1_S1_iiiiPfiiil,@function
_ZL23ssm_conv_long_token_f32ILb0ELm128ELm5ELl32EEvPKfS1_S1_iiiiPfiiil: ; @_ZL23ssm_conv_long_token_f32ILb0ELm128ELm5ELl32EEvPKfS1_S1_iiiiPfiiil
; %bb.0:
	v_mul_u32_u24_e32 v1, 0x71d, v0
	s_clause 0x1
	s_load_b128 s[4:7], s[0:1], 0x18
	s_load_b64 s[2:3], s[0:1], 0x0
	s_mov_b32 s8, s15
	v_lshrrev_b32_e32 v14, 16, v1
	s_delay_alu instid0(VALU_DEP_1) | instskip(NEXT) | instid1(VALU_DEP_1)
	v_mul_lo_u16 v1, v14, 36
	v_sub_nc_u16 v12, v0, v1
	s_delay_alu instid0(VALU_DEP_1) | instskip(SKIP_2) | instid1(SALU_CYCLE_1)
	v_or_b32_e32 v1, 0x80, v12
	s_waitcnt lgkmcnt(0)
	s_mul_i32 s6, s13, s6
	s_ashr_i32 s9, s6, 31
	s_add_u32 s10, s2, s6
	v_mul_lo_u16 v2, v1, 57
	s_addc_u32 s11, s3, s9
	s_ashr_i32 s6, s5, 2
	s_ashr_i32 s15, s14, 31
	;; [unrolled: 1-line block ×3, first 2 shown]
	v_lshrrev_b16 v17, 11, v2
	v_alignbit_b32 v18, s15, s14, 25
	s_ashr_i32 s9, s8, 31
	s_lshl_b64 s[2:3], s[14:15], 7
	s_lshl_b64 s[14:15], s[8:9], 5
	v_mul_lo_u16 v2, v17, 36
	v_mul_lo_u32 v18, v18, s5
	v_alignbit_b32 v20, s9, s8, 27
	s_mul_i32 s8, s2, s12
	s_mul_hi_u32 s9, s2, s5
	v_sub_nc_u16 v1, v1, v2
	s_add_i32 s9, s9, s8
	v_and_b32_e32 v22, 0xffff, v17
	v_mul_lo_u32 v20, v20, s4
	v_add_nc_u32_e32 v23, s9, v18
	v_and_b32_e32 v1, 0xff, v1
	s_ashr_i32 s16, s4, 31
	v_add_nc_u32_e32 v44, v14, v22
	s_mul_i32 s12, s2, s5
	s_mul_i32 s16, s14, s16
	v_or_b32_e32 v2, 0x80, v1
	s_mul_hi_u32 s17, s14, s4
	v_add_co_u32 v22, vcc_lo, s10, s12
	s_add_i32 s17, s17, s16
	s_delay_alu instid0(VALU_DEP_2) | instskip(SKIP_3) | instid1(VALU_DEP_3)
	v_mul_lo_u16 v3, v2, 57
	v_add_nc_u32_e32 v28, s17, v20
	v_add_co_ci_u32_e32 v23, vcc_lo, s11, v23, vcc_lo
	s_mul_i32 s5, s14, s4
	v_lshrrev_b16 v19, 11, v3
	s_mov_b32 s4, exec_lo
	s_delay_alu instid0(VALU_DEP_1) | instskip(NEXT) | instid1(VALU_DEP_1)
	v_mul_lo_u16 v3, v19, 36
	v_sub_nc_u16 v2, v2, v3
	s_delay_alu instid0(VALU_DEP_1) | instskip(NEXT) | instid1(VALU_DEP_1)
	v_and_b32_e32 v2, 0xff, v2
	v_or_b32_e32 v3, 0x80, v2
	s_delay_alu instid0(VALU_DEP_1) | instskip(NEXT) | instid1(VALU_DEP_1)
	v_mul_lo_u16 v4, v3, 57
	v_lshrrev_b16 v24, 11, v4
	s_delay_alu instid0(VALU_DEP_1) | instskip(NEXT) | instid1(VALU_DEP_1)
	v_mul_lo_u16 v4, v24, 36
	v_sub_nc_u16 v3, v3, v4
	s_delay_alu instid0(VALU_DEP_1) | instskip(NEXT) | instid1(VALU_DEP_1)
	v_and_b32_e32 v3, 0xff, v3
	v_or_b32_e32 v4, 0x80, v3
	s_delay_alu instid0(VALU_DEP_1) | instskip(NEXT) | instid1(VALU_DEP_1)
	v_mul_lo_u16 v5, v4, 57
	v_lshrrev_b16 v25, 11, v5
	;; [unrolled: 9-line block ×3, first 2 shown]
	s_delay_alu instid0(VALU_DEP_1) | instskip(SKIP_1) | instid1(VALU_DEP_2)
	v_mul_lo_u16 v6, v26, 36
	v_and_b32_e32 v26, 0xffff, v26
	v_sub_nc_u16 v5, v5, v6
	s_delay_alu instid0(VALU_DEP_1) | instskip(NEXT) | instid1(VALU_DEP_1)
	v_and_b32_e32 v5, 0xff, v5
	v_or_b32_e32 v6, 0x80, v5
	s_delay_alu instid0(VALU_DEP_1) | instskip(NEXT) | instid1(VALU_DEP_1)
	v_mul_lo_u16 v7, v6, 57
	v_lshrrev_b16 v31, 11, v7
	s_delay_alu instid0(VALU_DEP_1) | instskip(NEXT) | instid1(VALU_DEP_1)
	v_mul_lo_u16 v7, v31, 36
	v_sub_nc_u16 v6, v6, v7
	s_delay_alu instid0(VALU_DEP_1) | instskip(NEXT) | instid1(VALU_DEP_1)
	v_and_b32_e32 v6, 0xff, v6
	v_or_b32_e32 v7, 0x80, v6
	s_delay_alu instid0(VALU_DEP_1) | instskip(NEXT) | instid1(VALU_DEP_1)
	v_mul_lo_u16 v8, v7, 57
	v_lshrrev_b16 v33, 11, v8
	s_delay_alu instid0(VALU_DEP_1) | instskip(NEXT) | instid1(VALU_DEP_1)
	v_mul_lo_u16 v8, v33, 36
	v_sub_nc_u16 v7, v7, v8
	s_delay_alu instid0(VALU_DEP_1) | instskip(NEXT) | instid1(VALU_DEP_1)
	v_and_b32_e32 v7, 0xff, v7
	v_or_b32_e32 v8, 0x80, v7
	s_delay_alu instid0(VALU_DEP_1) | instskip(NEXT) | instid1(VALU_DEP_1)
	v_mul_lo_u16 v9, v8, 57
	v_lshrrev_b16 v36, 11, v9
	s_delay_alu instid0(VALU_DEP_1) | instskip(SKIP_1) | instid1(VALU_DEP_2)
	v_mul_lo_u16 v9, v36, 36
	v_and_b32_e32 v36, 0xffff, v36
	v_sub_nc_u16 v8, v8, v9
	s_delay_alu instid0(VALU_DEP_1) | instskip(NEXT) | instid1(VALU_DEP_1)
	v_and_b32_e32 v8, 0xff, v8
	v_or_b32_e32 v9, 0x80, v8
	s_delay_alu instid0(VALU_DEP_1) | instskip(NEXT) | instid1(VALU_DEP_1)
	v_mul_lo_u16 v10, v9, 57
	v_lshrrev_b16 v37, 11, v10
	s_delay_alu instid0(VALU_DEP_1) | instskip(NEXT) | instid1(VALU_DEP_1)
	v_mul_lo_u16 v10, v37, 36
	v_sub_nc_u16 v9, v9, v10
	s_delay_alu instid0(VALU_DEP_1) | instskip(NEXT) | instid1(VALU_DEP_1)
	v_and_b32_e32 v9, 0xff, v9
	v_or_b32_e32 v10, 0x80, v9
	s_delay_alu instid0(VALU_DEP_1) | instskip(NEXT) | instid1(VALU_DEP_1)
	v_mul_lo_u16 v11, v10, 57
	v_lshrrev_b16 v40, 11, v11
	s_delay_alu instid0(VALU_DEP_1) | instskip(NEXT) | instid1(VALU_DEP_1)
	v_mul_lo_u16 v11, v40, 36
	;; [unrolled: 9-line block ×3, first 2 shown]
	v_sub_nc_u16 v11, v11, v13
	s_delay_alu instid0(VALU_DEP_1) | instskip(NEXT) | instid1(VALU_DEP_1)
	v_and_b32_e32 v11, 0xff, v11
	v_or_b32_e32 v13, 0x80, v11
	s_delay_alu instid0(VALU_DEP_1) | instskip(NEXT) | instid1(VALU_DEP_1)
	v_mul_lo_u16 v15, v13, 57
	v_lshrrev_b16 v42, 11, v15
	v_and_b32_e32 v15, 0xffff, v12
	s_delay_alu instid0(VALU_DEP_2) | instskip(NEXT) | instid1(VALU_DEP_1)
	v_mul_lo_u16 v12, v42, 36
	v_sub_nc_u16 v12, v13, v12
	s_delay_alu instid0(VALU_DEP_1) | instskip(NEXT) | instid1(VALU_DEP_1)
	v_and_b32_e32 v16, 0xff, v12
	v_or_b32_e32 v21, 0x80, v16
	v_mad_u64_u32 v[12:13], null, s6, v14, v[15:16]
	v_mad_u32_u24 v14, v14, 36, v15
	s_delay_alu instid0(VALU_DEP_3) | instskip(NEXT) | instid1(VALU_DEP_2)
	v_mul_lo_u16 v13, v21, 57
	v_lshl_add_u32 v14, v14, 2, 0
	s_delay_alu instid0(VALU_DEP_2) | instskip(SKIP_1) | instid1(VALU_DEP_2)
	v_lshrrev_b16 v43, 11, v13
	v_ashrrev_i32_e32 v13, 31, v12
	v_mul_lo_u16 v27, v43, 36
	s_delay_alu instid0(VALU_DEP_2) | instskip(SKIP_2) | instid1(VALU_DEP_4)
	v_lshlrev_b64 v[17:18], 2, v[12:13]
	v_and_b32_e32 v12, 0xffff, v19
	v_mad_u64_u32 v[19:20], null, v44, s6, v[1:2]
	v_sub_nc_u16 v13, v21, v27
	v_mad_u32_u24 v1, v44, 36, v1
	s_delay_alu instid0(VALU_DEP_4) | instskip(SKIP_1) | instid1(VALU_DEP_4)
	v_add_nc_u32_e32 v45, v44, v12
	v_add_co_u32 v12, vcc_lo, v22, s5
	v_and_b32_e32 v21, 0xff, v13
	v_add_co_ci_u32_e32 v13, vcc_lo, v23, v28, vcc_lo
	s_delay_alu instid0(VALU_DEP_4) | instskip(NEXT) | instid1(VALU_DEP_3)
	v_mad_u64_u32 v[22:23], null, v45, s6, v[2:3]
	v_or_b32_e32 v27, 0x80, v21
	v_and_b32_e32 v23, 0xffff, v24
	v_and_b32_e32 v28, 0xffff, v25
	v_ashrrev_i32_e32 v20, 31, v19
	v_add_co_u32 v17, vcc_lo, v12, v17
	v_mul_lo_u16 v24, v27, 57
	v_add_nc_u32_e32 v47, v45, v23
	v_ashrrev_i32_e32 v23, 31, v22
	v_lshlrev_b64 v[19:20], 2, v[19:20]
	v_add_co_ci_u32_e32 v18, vcc_lo, v13, v18, vcc_lo
	v_lshrrev_b16 v46, 11, v24
	v_add_nc_u32_e32 v48, v47, v28
	v_mad_u64_u32 v[24:25], null, v47, s6, v[3:4]
	v_lshlrev_b64 v[22:23], 2, v[22:23]
	s_delay_alu instid0(VALU_DEP_4) | instskip(NEXT) | instid1(VALU_DEP_4)
	v_mul_lo_u16 v29, v46, 36
	v_add_nc_u32_e32 v49, v48, v26
	v_add_co_u32 v19, vcc_lo, v12, v19
	v_add_co_ci_u32_e32 v20, vcc_lo, v13, v20, vcc_lo
	s_delay_alu instid0(VALU_DEP_4) | instskip(NEXT) | instid1(VALU_DEP_4)
	v_sub_nc_u16 v27, v27, v29
	v_mad_u64_u32 v[29:30], null, v49, s6, v[5:6]
	v_ashrrev_i32_e32 v25, 31, v24
	v_add_co_u32 v22, vcc_lo, v12, v22
	s_delay_alu instid0(VALU_DEP_4) | instskip(SKIP_3) | instid1(VALU_DEP_4)
	v_and_b32_e32 v26, 0xff, v27
	v_mad_u64_u32 v[27:28], null, v48, s6, v[4:5]
	v_and_b32_e32 v28, 0xffff, v31
	v_lshlrev_b64 v[24:25], 2, v[24:25]
	v_or_b32_e32 v35, 0x80, v26
	v_ashrrev_i32_e32 v30, 31, v29
	v_add_co_ci_u32_e32 v23, vcc_lo, v13, v23, vcc_lo
	v_add_nc_u32_e32 v50, v49, v28
	s_delay_alu instid0(VALU_DEP_4) | instskip(SKIP_2) | instid1(VALU_DEP_4)
	v_mul_lo_u16 v34, v35, 57
	v_ashrrev_i32_e32 v28, 31, v27
	v_add_co_u32 v24, vcc_lo, v12, v24
	v_mad_u64_u32 v[31:32], null, v50, s6, v[6:7]
	v_and_b32_e32 v32, 0xffff, v33
	v_lshrrev_b16 v51, 11, v34
	v_lshlrev_b64 v[27:28], 2, v[27:28]
	v_lshlrev_b64 v[29:30], 2, v[29:30]
	v_add_co_ci_u32_e32 v25, vcc_lo, v13, v25, vcc_lo
	v_add_nc_u32_e32 v52, v50, v32
	v_mul_lo_u16 v38, v51, 36
	v_ashrrev_i32_e32 v32, 31, v31
	v_add_co_u32 v27, vcc_lo, v12, v27
	s_delay_alu instid0(VALU_DEP_4) | instskip(NEXT) | instid1(VALU_DEP_4)
	v_mad_u64_u32 v[33:34], null, v52, s6, v[7:8]
	v_sub_nc_u16 v34, v35, v38
	v_add_nc_u32_e32 v54, v52, v36
	v_and_b32_e32 v38, 0xffff, v37
	v_lshlrev_b64 v[31:32], 2, v[31:32]
	v_add_co_ci_u32_e32 v28, vcc_lo, v13, v28, vcc_lo
	v_and_b32_e32 v35, 0xff, v34
	s_delay_alu instid0(VALU_DEP_4) | instskip(SKIP_2) | instid1(VALU_DEP_4)
	v_add_nc_u32_e32 v55, v54, v38
	v_ashrrev_i32_e32 v34, 31, v33
	v_mad_u64_u32 v[36:37], null, v54, s6, v[8:9]
	v_or_b32_e32 v53, 0x80, v35
	v_add_co_u32 v29, vcc_lo, v12, v29
	s_delay_alu instid0(VALU_DEP_4) | instskip(SKIP_1) | instid1(VALU_DEP_4)
	v_lshlrev_b64 v[33:34], 2, v[33:34]
	v_add_co_ci_u32_e32 v30, vcc_lo, v13, v30, vcc_lo
	v_mul_lo_u16 v39, v53, 57
	v_add_co_u32 v31, vcc_lo, v12, v31
	v_ashrrev_i32_e32 v37, 31, v36
	v_add_co_ci_u32_e32 v32, vcc_lo, v13, v32, vcc_lo
	s_delay_alu instid0(VALU_DEP_4) | instskip(SKIP_3) | instid1(VALU_DEP_4)
	v_lshrrev_b16 v56, 11, v39
	v_mad_u64_u32 v[38:39], null, v55, s6, v[9:10]
	v_and_b32_e32 v39, 0xffff, v40
	v_add_co_u32 v33, vcc_lo, v12, v33
	v_mul_lo_u16 v57, v56, 36
	v_add_co_ci_u32_e32 v34, vcc_lo, v13, v34, vcc_lo
	s_delay_alu instid0(VALU_DEP_4) | instskip(SKIP_1) | instid1(VALU_DEP_4)
	v_add_nc_u32_e32 v64, v55, v39
	v_ashrrev_i32_e32 v39, 31, v38
	v_sub_nc_u16 v40, v53, v57
	s_clause 0x7
	global_load_b32 v53, v[17:18], off
	global_load_b32 v57, v[19:20], off
	;; [unrolled: 1-line block ×8, first 2 shown]
	v_lshlrev_b64 v[17:18], 2, v[36:37]
	v_and_b32_e32 v20, 0xffff, v41
	v_lshlrev_b64 v[24:25], 2, v[38:39]
	v_and_b32_e32 v19, 0xff, v40
	v_mad_u64_u32 v[22:23], null, v64, s6, v[10:11]
	v_add_co_u32 v17, vcc_lo, v12, v17
	v_add_co_ci_u32_e32 v18, vcc_lo, v13, v18, vcc_lo
	v_add_co_u32 v24, vcc_lo, v12, v24
	v_add_co_ci_u32_e32 v25, vcc_lo, v13, v25, vcc_lo
	s_clause 0x1
	global_load_b32 v71, v[17:18], off
	global_load_b32 v25, v[24:25], off
	v_or_b32_e32 v29, 0x80, v19
	v_add_nc_u32_e32 v65, v64, v20
	v_and_b32_e32 v20, 0xffff, v42
	v_ashrrev_i32_e32 v23, 31, v22
	v_and_b32_e32 v40, 0xffff, v56
	v_mul_lo_u16 v27, v29, 57
	v_mad_u32_u24 v15, v45, 36, v2
	v_add_nc_u32_e32 v66, v65, v20
	v_and_b32_e32 v20, 0xffff, v43
	v_lshlrev_b64 v[22:23], 2, v[22:23]
	v_lshrrev_b16 v39, 11, v27
	v_mad_u64_u32 v[27:28], null, v65, s6, v[11:12]
	s_delay_alu instid0(VALU_DEP_4) | instskip(SKIP_1) | instid1(VALU_DEP_4)
	v_add_nc_u32_e32 v43, v66, v20
	v_mad_u32_u24 v3, v47, 36, v3
	v_mul_lo_u16 v30, v39, 36
	v_and_b32_e32 v41, 0xffff, v39
	s_delay_alu instid0(VALU_DEP_4) | instskip(NEXT) | instid1(VALU_DEP_3)
	v_mad_u64_u32 v[31:32], null, v43, s6, v[21:22]
	v_sub_nc_u16 v20, v29, v30
	v_ashrrev_i32_e32 v28, 31, v27
	v_mad_u64_u32 v[29:30], null, v66, s6, v[16:17]
	v_and_b32_e32 v30, 0xffff, v46
	s_delay_alu instid0(VALU_DEP_4) | instskip(NEXT) | instid1(VALU_DEP_4)
	v_and_b32_e32 v20, 0xff, v20
	v_lshlrev_b64 v[27:28], 2, v[27:28]
	v_ashrrev_i32_e32 v32, 31, v31
	v_add_co_u32 v22, vcc_lo, v12, v22
	v_add_nc_u32_e32 v46, v43, v30
	v_or_b32_e32 v38, 0x80, v20
	v_ashrrev_i32_e32 v30, 31, v29
	v_add_co_ci_u32_e32 v23, vcc_lo, v13, v23, vcc_lo
	s_delay_alu instid0(VALU_DEP_4) | instskip(SKIP_4) | instid1(VALU_DEP_4)
	v_mad_u64_u32 v[33:34], null, v46, s6, v[26:27]
	v_and_b32_e32 v34, 0xffff, v51
	v_mul_lo_u16 v36, v38, 57
	v_lshlrev_b64 v[29:30], 2, v[29:30]
	v_add_co_u32 v27, vcc_lo, v12, v27
	v_add_nc_u32_e32 v51, v46, v34
	s_delay_alu instid0(VALU_DEP_4)
	v_lshrrev_b16 v67, 11, v36
	v_ashrrev_i32_e32 v34, 31, v33
	v_lshlrev_b64 v[31:32], 2, v[31:32]
	v_add_co_ci_u32_e32 v28, vcc_lo, v13, v28, vcc_lo
	v_mad_u64_u32 v[36:37], null, v51, s6, v[35:36]
	v_mul_lo_u16 v37, v67, 36
	v_add_nc_u32_e32 v56, v51, v40
	v_add_co_u32 v29, vcc_lo, v12, v29
	v_lshlrev_b64 v[33:34], 2, v[33:34]
	s_delay_alu instid0(VALU_DEP_4) | instskip(NEXT) | instid1(VALU_DEP_4)
	v_sub_nc_u16 v38, v38, v37
	v_mad_u64_u32 v[39:40], null, v56, s6, v[19:20]
	v_add_nc_u32_e32 v69, v56, v41
	v_ashrrev_i32_e32 v37, 31, v36
	s_delay_alu instid0(VALU_DEP_4) | instskip(SKIP_1) | instid1(VALU_DEP_4)
	v_and_b32_e32 v38, 0xff, v38
	v_add_co_ci_u32_e32 v30, vcc_lo, v13, v30, vcc_lo
	v_mad_u64_u32 v[41:42], null, v69, s6, v[20:21]
	s_delay_alu instid0(VALU_DEP_3) | instskip(SKIP_3) | instid1(VALU_DEP_4)
	v_or_b32_e32 v68, 0x80, v38
	v_and_b32_e32 v42, 0xffff, v67
	v_add_co_u32 v31, vcc_lo, v12, v31
	v_lshlrev_b64 v[36:37], 2, v[36:37]
	v_mul_lo_u16 v40, v68, 57
	s_delay_alu instid0(VALU_DEP_4) | instskip(SKIP_2) | instid1(VALU_DEP_4)
	v_add_nc_u32_e32 v72, v69, v42
	v_add_co_ci_u32_e32 v32, vcc_lo, v13, v32, vcc_lo
	v_add_co_u32 v33, vcc_lo, v12, v33
	v_lshrrev_b16 v70, 11, v40
	v_add_co_ci_u32_e32 v34, vcc_lo, v13, v34, vcc_lo
	v_mad_u64_u32 v[17:18], null, v72, s6, v[38:39]
	s_delay_alu instid0(VALU_DEP_3) | instskip(SKIP_3) | instid1(VALU_DEP_4)
	v_mul_lo_u16 v67, v70, 36
	v_and_b32_e32 v24, 0xffff, v70
	v_add_co_u32 v36, vcc_lo, v12, v36
	v_ashrrev_i32_e32 v40, 31, v39
	v_sub_nc_u16 v67, v68, v67
	s_delay_alu instid0(VALU_DEP_4) | instskip(SKIP_2) | instid1(VALU_DEP_4)
	v_add_nc_u32_e32 v68, v72, v24
	v_add_co_ci_u32_e32 v37, vcc_lo, v13, v37, vcc_lo
	v_ashrrev_i32_e32 v42, 31, v41
	v_and_b32_e32 v24, 0xff, v67
	s_clause 0x5
	global_load_b32 v67, v[22:23], off
	global_load_b32 v70, v[27:28], off
	;; [unrolled: 1-line block ×6, first 2 shown]
	v_lshlrev_b64 v[22:23], 2, v[39:40]
	v_ashrrev_i32_e32 v18, 31, v17
	v_lshlrev_b64 v[29:30], 2, v[41:42]
	s_delay_alu instid0(VALU_DEP_3) | instskip(NEXT) | instid1(VALU_DEP_3)
	v_add_co_u32 v22, vcc_lo, v12, v22
	v_lshlrev_b64 v[17:18], 2, v[17:18]
	v_add_co_ci_u32_e32 v23, vcc_lo, v13, v23, vcc_lo
	s_delay_alu instid0(VALU_DEP_4) | instskip(SKIP_1) | instid1(VALU_DEP_4)
	v_add_co_u32 v29, vcc_lo, v12, v29
	v_add_co_ci_u32_e32 v30, vcc_lo, v13, v30, vcc_lo
	v_add_co_u32 v17, vcc_lo, v12, v17
	v_add_co_ci_u32_e32 v18, vcc_lo, v13, v18, vcc_lo
	s_waitcnt vmcnt(6)
	v_mad_u64_u32 v[27:28], null, v68, s6, v[24:25]
	s_delay_alu instid0(VALU_DEP_1) | instskip(NEXT) | instid1(VALU_DEP_1)
	v_ashrrev_i32_e32 v28, 31, v27
	v_lshlrev_b64 v[27:28], 2, v[27:28]
	s_delay_alu instid0(VALU_DEP_1) | instskip(NEXT) | instid1(VALU_DEP_2)
	v_add_co_u32 v27, vcc_lo, v12, v27
	v_add_co_ci_u32_e32 v28, vcc_lo, v13, v28, vcc_lo
	s_clause 0x3
	global_load_b32 v22, v[22:23], off
	global_load_b32 v23, v[29:30], off
	;; [unrolled: 1-line block ×4, first 2 shown]
	ds_store_b32 v14, v53
	v_lshl_add_u32 v14, v1, 2, 0
	v_mad_u64_u32 v[1:2], null, v50, 36, v[6:7]
	v_mad_u32_u24 v2, v48, 36, v4
	v_mad_u32_u24 v4, v49, 36, v5
	ds_store_b32 v14, v57
	v_lshl_add_u32 v6, v3, 2, 0
	v_lshl_add_u32 v5, v15, 2, 0
	;; [unrolled: 1-line block ×4, first 2 shown]
	v_mad_u64_u32 v[1:2], null, v52, 36, v[7:8]
	v_mad_u64_u32 v[2:3], null, v54, 36, v[8:9]
	v_lshl_add_u32 v15, v4, 2, 0
	v_mad_u64_u32 v[3:4], null, v55, 36, v[9:10]
	ds_store_b32 v5, v58
	ds_store_b32 v6, v59
	ds_store_b32 v14, v60
	ds_store_b32 v15, v61
	ds_store_b32 v27, v62
	v_lshl_add_u32 v5, v1, 2, 0
	v_or_b32_e32 v8, 0x80, v24
	v_lshl_add_u32 v6, v2, 2, 0
	v_mad_u64_u32 v[1:2], null, v64, 36, v[10:11]
	v_lshl_add_u32 v7, v3, 2, 0
	v_mad_u64_u32 v[2:3], null, v65, 36, v[11:12]
	ds_store_b32 v5, v63
	ds_store_b32 v6, v71
	;; [unrolled: 1-line block ×3, first 2 shown]
	v_lshl_add_u32 v6, v2, 2, 0
	s_waitcnt vmcnt(1)
	v_mad_u64_u32 v[3:4], null, v66, 36, v[16:17]
	v_mad_u64_u32 v[4:5], null, v43, 36, v[21:22]
	v_lshl_add_u32 v5, v1, 2, 0
	v_mad_u64_u32 v[1:2], null, v46, 36, v[26:27]
	ds_store_b32 v5, v67
	ds_store_b32 v6, v70
	v_lshl_add_u32 v7, v3, 2, 0
	v_mad_u64_u32 v[2:3], null, v51, 36, v[35:36]
	v_lshl_add_u32 v3, v4, 2, 0
	v_mul_lo_u16 v5, v8, 57
	ds_store_b32 v7, v73
	ds_store_b32 v3, v31
	v_lshl_add_u32 v7, v1, 2, 0
	v_lshl_add_u32 v9, v2, 2, 0
	v_mad_u64_u32 v[1:2], null, v56, 36, v[19:20]
	v_lshrrev_b16 v2, 11, v5
	v_mad_u64_u32 v[3:4], null, v69, 36, v[20:21]
	v_mad_u64_u32 v[4:5], null, v72, 36, v[38:39]
	;; [unrolled: 1-line block ×3, first 2 shown]
	s_delay_alu instid0(VALU_DEP_4)
	v_mul_lo_u16 v6, v2, 36
	v_and_b32_e32 v2, 0xffff, v2
	ds_store_b32 v7, v32
	ds_store_b32 v9, v33
	v_lshl_add_u32 v7, v1, 2, 0
	v_lshl_add_u32 v3, v3, 2, 0
	v_sub_nc_u16 v1, v8, v6
	v_add_nc_u32_e32 v2, v68, v2
	v_lshl_add_u32 v4, v4, 2, 0
	v_lshl_add_u32 v5, v5, 2, 0
	ds_store_b32 v7, v22
	ds_store_b32 v3, v23
	;; [unrolled: 1-line block ×3, first 2 shown]
	s_waitcnt vmcnt(0)
	ds_store_b32 v5, v18
	v_and_b32_e32 v1, 0xff, v1
	v_cmpx_gt_u32_e32 0x80, v2
	s_cbranch_execz .LBB15_2
; %bb.1:
	s_delay_alu instid0(VALU_DEP_2) | instskip(NEXT) | instid1(VALU_DEP_1)
	v_mad_u64_u32 v[3:4], null, v2, s6, v[1:2]
	v_ashrrev_i32_e32 v4, 31, v3
	s_delay_alu instid0(VALU_DEP_1) | instskip(NEXT) | instid1(VALU_DEP_1)
	v_lshlrev_b64 v[3:4], 2, v[3:4]
	v_add_co_u32 v3, vcc_lo, v12, v3
	s_delay_alu instid0(VALU_DEP_2) | instskip(SKIP_2) | instid1(VALU_DEP_1)
	v_add_co_ci_u32_e32 v4, vcc_lo, v13, v4, vcc_lo
	global_load_b32 v5, v[3:4], off
	v_mad_u64_u32 v[3:4], null, v2, 36, v[1:2]
	v_lshl_add_u32 v3, v3, 2, 0
	s_waitcnt vmcnt(0)
	ds_store_b32 v3, v5
.LBB15_2:
	s_or_b32 exec_lo, exec_lo, s4
	s_delay_alu instid0(VALU_DEP_2) | instskip(SKIP_1) | instid1(VALU_DEP_1)
	v_or_b32_e32 v1, 0x80, v1
	s_mov_b32 s4, exec_lo
	v_mul_lo_u16 v3, v1, 57
	s_delay_alu instid0(VALU_DEP_1) | instskip(NEXT) | instid1(VALU_DEP_1)
	v_lshrrev_b16 v3, 11, v3
	v_mul_lo_u16 v4, v3, 36
	v_and_b32_e32 v3, 0xffff, v3
	s_delay_alu instid0(VALU_DEP_2) | instskip(NEXT) | instid1(VALU_DEP_2)
	v_sub_nc_u16 v1, v1, v4
	v_add_nc_u32_e32 v2, v2, v3
	s_delay_alu instid0(VALU_DEP_2) | instskip(NEXT) | instid1(VALU_DEP_2)
	v_and_b32_e32 v1, 0xff, v1
	v_cmpx_gt_u32_e32 0x80, v2
	s_cbranch_execz .LBB15_4
; %bb.3:
	s_delay_alu instid0(VALU_DEP_2) | instskip(NEXT) | instid1(VALU_DEP_1)
	v_mad_u64_u32 v[3:4], null, v2, s6, v[1:2]
	v_ashrrev_i32_e32 v4, 31, v3
	s_delay_alu instid0(VALU_DEP_1) | instskip(NEXT) | instid1(VALU_DEP_1)
	v_lshlrev_b64 v[3:4], 2, v[3:4]
	v_add_co_u32 v3, vcc_lo, v12, v3
	s_delay_alu instid0(VALU_DEP_2) | instskip(SKIP_2) | instid1(VALU_DEP_1)
	v_add_co_ci_u32_e32 v4, vcc_lo, v13, v4, vcc_lo
	global_load_b32 v5, v[3:4], off
	v_mad_u64_u32 v[3:4], null, v2, 36, v[1:2]
	v_lshl_add_u32 v3, v3, 2, 0
	s_waitcnt vmcnt(0)
	ds_store_b32 v3, v5
.LBB15_4:
	s_or_b32 exec_lo, exec_lo, s4
	s_delay_alu instid0(VALU_DEP_2) | instskip(SKIP_1) | instid1(VALU_DEP_1)
	v_or_b32_e32 v1, 0x80, v1
	s_mov_b32 s4, exec_lo
	v_mul_lo_u16 v3, v1, 57
	s_delay_alu instid0(VALU_DEP_1) | instskip(NEXT) | instid1(VALU_DEP_1)
	v_lshrrev_b16 v3, 11, v3
	v_mul_lo_u16 v4, v3, 36
	v_and_b32_e32 v3, 0xffff, v3
	s_delay_alu instid0(VALU_DEP_2) | instskip(NEXT) | instid1(VALU_DEP_2)
	v_sub_nc_u16 v1, v1, v4
	v_add_nc_u32_e32 v2, v2, v3
	s_delay_alu instid0(VALU_DEP_2) | instskip(NEXT) | instid1(VALU_DEP_2)
	;; [unrolled: 31-line block ×8, first 2 shown]
	v_and_b32_e32 v1, 0xff, v1
	v_cmpx_gt_u32_e32 0x80, v2
	s_cbranch_execz .LBB15_18
; %bb.17:
	s_delay_alu instid0(VALU_DEP_2) | instskip(NEXT) | instid1(VALU_DEP_1)
	v_mad_u64_u32 v[3:4], null, v2, s6, v[1:2]
	v_ashrrev_i32_e32 v4, 31, v3
	s_delay_alu instid0(VALU_DEP_1) | instskip(NEXT) | instid1(VALU_DEP_1)
	v_lshlrev_b64 v[3:4], 2, v[3:4]
	v_add_co_u32 v3, vcc_lo, v12, v3
	s_delay_alu instid0(VALU_DEP_2) | instskip(SKIP_2) | instid1(VALU_DEP_1)
	v_add_co_ci_u32_e32 v4, vcc_lo, v13, v4, vcc_lo
	global_load_b32 v5, v[3:4], off
	v_mad_u64_u32 v[3:4], null, v2, 36, v[1:2]
	v_lshl_add_u32 v3, v3, 2, 0
	s_waitcnt vmcnt(0)
	ds_store_b32 v3, v5
.LBB15_18:
	s_or_b32 exec_lo, exec_lo, s4
	s_clause 0x1
	s_load_b128 s[8:11], s[0:1], 0x8
	s_load_b64 s[4:5], s[0:1], 0x28
	s_mov_b32 s12, exec_lo
	v_cmpx_gt_u32_e32 0x380, v0
	s_cbranch_execz .LBB15_39
; %bb.19:
	v_or_b32_e32 v1, 0x80, v1
	s_mov_b32 s16, exec_lo
	s_delay_alu instid0(VALU_DEP_1) | instskip(NEXT) | instid1(VALU_DEP_1)
	v_mul_lo_u16 v3, v1, 57
	v_lshrrev_b16 v3, 11, v3
	s_delay_alu instid0(VALU_DEP_1) | instskip(SKIP_1) | instid1(VALU_DEP_2)
	v_mul_lo_u16 v4, v3, 36
	v_and_b32_e32 v3, 0xffff, v3
	v_sub_nc_u16 v1, v1, v4
	s_delay_alu instid0(VALU_DEP_2) | instskip(NEXT) | instid1(VALU_DEP_2)
	v_add_nc_u32_e32 v2, v2, v3
	v_and_b32_e32 v1, 0xff, v1
	s_delay_alu instid0(VALU_DEP_2)
	v_cmpx_gt_u32_e32 0x80, v2
	s_cbranch_execz .LBB15_21
; %bb.20:
	s_delay_alu instid0(VALU_DEP_2) | instskip(NEXT) | instid1(VALU_DEP_1)
	v_mad_u64_u32 v[3:4], null, v2, s6, v[1:2]
	v_ashrrev_i32_e32 v4, 31, v3
	s_delay_alu instid0(VALU_DEP_1) | instskip(NEXT) | instid1(VALU_DEP_1)
	v_lshlrev_b64 v[3:4], 2, v[3:4]
	v_add_co_u32 v3, vcc_lo, v12, v3
	s_delay_alu instid0(VALU_DEP_2) | instskip(SKIP_2) | instid1(VALU_DEP_1)
	v_add_co_ci_u32_e32 v4, vcc_lo, v13, v4, vcc_lo
	global_load_b32 v5, v[3:4], off
	v_mad_u64_u32 v[3:4], null, v2, 36, v[1:2]
	v_lshl_add_u32 v3, v3, 2, 0
	s_waitcnt vmcnt(0)
	ds_store_b32 v3, v5
.LBB15_21:
	s_or_b32 exec_lo, exec_lo, s16
	v_cmp_gt_u32_e32 vcc_lo, 0x300, v0
	s_and_b32 exec_lo, exec_lo, vcc_lo
	s_cbranch_execz .LBB15_39
; %bb.22:
	v_or_b32_e32 v1, 0x80, v1
	s_mov_b32 s16, exec_lo
	s_delay_alu instid0(VALU_DEP_1) | instskip(NEXT) | instid1(VALU_DEP_1)
	v_mul_lo_u16 v3, v1, 57
	v_lshrrev_b16 v3, 11, v3
	s_delay_alu instid0(VALU_DEP_1) | instskip(SKIP_1) | instid1(VALU_DEP_2)
	v_mul_lo_u16 v4, v3, 36
	v_and_b32_e32 v3, 0xffff, v3
	v_sub_nc_u16 v1, v1, v4
	s_delay_alu instid0(VALU_DEP_2) | instskip(NEXT) | instid1(VALU_DEP_2)
	v_add_nc_u32_e32 v2, v2, v3
	v_and_b32_e32 v1, 0xff, v1
	s_delay_alu instid0(VALU_DEP_2)
	v_cmpx_gt_u32_e32 0x80, v2
	s_cbranch_execz .LBB15_24
; %bb.23:
	s_delay_alu instid0(VALU_DEP_2) | instskip(NEXT) | instid1(VALU_DEP_1)
	v_mad_u64_u32 v[3:4], null, v2, s6, v[1:2]
	v_ashrrev_i32_e32 v4, 31, v3
	s_delay_alu instid0(VALU_DEP_1) | instskip(NEXT) | instid1(VALU_DEP_1)
	v_lshlrev_b64 v[3:4], 2, v[3:4]
	v_add_co_u32 v3, vcc_lo, v12, v3
	s_delay_alu instid0(VALU_DEP_2) | instskip(SKIP_2) | instid1(VALU_DEP_1)
	v_add_co_ci_u32_e32 v4, vcc_lo, v13, v4, vcc_lo
	global_load_b32 v5, v[3:4], off
	v_mad_u64_u32 v[3:4], null, v2, 36, v[1:2]
	v_lshl_add_u32 v3, v3, 2, 0
	s_waitcnt vmcnt(0)
	ds_store_b32 v3, v5
.LBB15_24:
	s_or_b32 exec_lo, exec_lo, s16
	v_cmp_gt_u32_e32 vcc_lo, 0x280, v0
	s_and_b32 exec_lo, exec_lo, vcc_lo
	;; [unrolled: 35-line block ×6, first 2 shown]
	s_cbranch_execz .LBB15_39
; %bb.37:
	v_or_b32_e32 v3, 0x80, v1
	s_delay_alu instid0(VALU_DEP_1) | instskip(NEXT) | instid1(VALU_DEP_1)
	v_mul_lo_u16 v1, v3, 57
	v_lshrrev_b16 v4, 11, v1
	s_delay_alu instid0(VALU_DEP_1) | instskip(NEXT) | instid1(VALU_DEP_1)
	v_and_b32_e32 v1, 0xffff, v4
	v_add_nc_u32_e32 v1, v2, v1
	s_delay_alu instid0(VALU_DEP_1)
	v_cmp_gt_u32_e32 vcc_lo, 0x80, v1
	s_and_b32 exec_lo, exec_lo, vcc_lo
	s_cbranch_execz .LBB15_39
; %bb.38:
	v_mul_lo_u16 v2, v4, 36
	s_delay_alu instid0(VALU_DEP_1) | instskip(NEXT) | instid1(VALU_DEP_1)
	v_sub_nc_u16 v2, v3, v2
	v_and_b32_e32 v2, 0xff, v2
	s_delay_alu instid0(VALU_DEP_1) | instskip(NEXT) | instid1(VALU_DEP_1)
	v_mad_u64_u32 v[3:4], null, v1, s6, v[2:3]
	v_ashrrev_i32_e32 v4, 31, v3
	s_delay_alu instid0(VALU_DEP_1) | instskip(NEXT) | instid1(VALU_DEP_1)
	v_lshlrev_b64 v[3:4], 2, v[3:4]
	v_add_co_u32 v3, vcc_lo, v12, v3
	s_delay_alu instid0(VALU_DEP_2) | instskip(SKIP_2) | instid1(VALU_DEP_1)
	v_add_co_ci_u32_e32 v4, vcc_lo, v13, v4, vcc_lo
	global_load_b32 v5, v[3:4], off
	v_mad_u64_u32 v[3:4], null, v1, 36, v[2:3]
	v_lshl_add_u32 v1, v3, 2, 0
	s_waitcnt vmcnt(0)
	ds_store_b32 v1, v5
.LBB15_39:
	s_or_b32 exec_lo, exec_lo, s12
	s_ashr_i32 s6, s7, 31
	s_mul_hi_u32 s12, s2, s7
	s_mul_i32 s6, s2, s6
	s_mul_i32 s16, s3, s7
	s_add_i32 s6, s12, s6
	s_mul_i32 s12, s2, s7
	s_add_i32 s6, s6, s16
	s_waitcnt lgkmcnt(0)
	s_add_u32 s8, s8, s12
	s_addc_u32 s6, s9, s6
	s_ashr_i32 s7, s7, 2
	s_delay_alu instid0(SALU_CYCLE_1)
	v_mul_lo_u32 v1, s7, v0
	s_barrier
	buffer_gl0_inv
	v_lshlrev_b32_e32 v9, 2, v0
	s_cmp_eq_u64 s[10:11], 0
	v_ashrrev_i32_e32 v2, 31, v1
	s_delay_alu instid0(VALU_DEP_1) | instskip(NEXT) | instid1(VALU_DEP_1)
	v_lshlrev_b64 v[1:2], 2, v[1:2]
	v_add_co_u32 v1, vcc_lo, s8, v1
	s_delay_alu instid0(VALU_DEP_2)
	v_add_co_ci_u32_e32 v2, vcc_lo, s6, v2, vcc_lo
	s_clause 0x1
	global_load_b32 v10, v[1:2], off offset:16
	global_load_b128 v[1:4], v[1:2], off
	s_cbranch_scc1 .LBB15_41
; %bb.40:
	s_lshl_b64 s[6:7], s[2:3], 2
	s_delay_alu instid0(SALU_CYCLE_1)
	s_add_u32 s6, s10, s6
	s_addc_u32 s7, s11, s7
	global_load_b32 v11, v9, s[6:7]
	s_branch .LBB15_42
.LBB15_41:
	v_mov_b32_e32 v11, 0
.LBB15_42:
	s_load_b64 s[6:7], s[0:1], 0x40
	s_waitcnt lgkmcnt(0)
	s_sub_u32 s6, s6, s14
	s_subb_u32 s7, s7, s15
	s_delay_alu instid0(SALU_CYCLE_1) | instskip(NEXT) | instid1(VALU_DEP_1)
	v_cmp_lt_i64_e64 s8, s[6:7], 1
	s_and_b32 vcc_lo, exec_lo, s8
	s_cbranch_vccnz .LBB15_49
; %bb.43:
	s_load_b128 s[8:11], s[0:1], 0x30
	v_cmp_lt_i64_e64 s1, s[6:7], 32
	v_mul_u32_u24_e32 v0, 36, v0
	s_waitcnt lgkmcnt(0)
	s_mul_i32 s13, s13, s10
	s_ashr_i32 s10, s9, 31
	s_ashr_i32 s16, s8, 31
	s_mul_hi_u32 s11, s14, s9
	s_mul_hi_u32 s17, s2, s8
	s_mul_i32 s10, s14, s10
	s_mul_i32 s16, s2, s16
	;; [unrolled: 1-line block ×4, first 2 shown]
	s_add_i32 s10, s11, s10
	s_add_i32 s11, s17, s16
	s_ashr_i32 s0, s9, 2
	s_ashr_i32 s12, s13, 31
	s_add_i32 s16, s10, s15
	s_add_i32 s15, s11, s3
	s_and_b32 s1, s1, exec_lo
	s_cselect_b32 s11, s7, 0
	s_cselect_b32 s10, s6, 32
	s_ashr_i32 s1, s0, 31
	v_cmp_gt_i64_e64 s11, s[10:11], 1
	s_mul_i32 s17, s14, s9
	s_mul_i32 s14, s2, s8
	s_mov_b32 s3, 0
	s_delay_alu instid0(VALU_DEP_1)
	s_and_b32 s2, s11, exec_lo
	s_cselect_b32 s18, s10, 1
	s_cmp_eq_u64 s[6:7], 1
	s_mov_b64 s[6:7], 0
	s_cbranch_scc1 .LBB15_47
; %bb.44:
	v_lshl_add_u32 v12, v0, 2, 0
	s_and_b32 s2, s18, 62
	s_lshl_b64 s[6:7], s[0:1], 2
	s_add_u32 s8, s14, s17
	s_addc_u32 s9, s15, s16
	ds_load_b32 v6, v12
	s_add_u32 s10, s4, s13
	s_addc_u32 s11, s5, s12
	s_add_u32 s8, s10, s8
	s_addc_u32 s9, s11, s9
	v_add_co_u32 v7, s8, s8, v9
	s_delay_alu instid0(VALU_DEP_1)
	v_add_co_ci_u32_e64 v8, null, s9, 0, s8
	s_lshl_b64 s[8:9], s[0:1], 3
	s_mov_b64 s[10:11], 0
	s_set_inst_prefetch_distance 0x1
	.p2align	6
.LBB15_45:                              ; =>This Inner Loop Header: Depth=1
	s_waitcnt vmcnt(0) lgkmcnt(0)
	v_fma_f32 v17, v1, v6, 0
	ds_load_2addr_b32 v[5:6], v12 offset0:1 offset1:2
	ds_load_2addr_b32 v[13:14], v12 offset0:3 offset1:4
	v_add_nc_u32_e32 v18, 8, v12
	ds_load_b32 v19, v12 offset:20
	v_add_co_u32 v15, vcc_lo, v7, s6
	v_add_co_ci_u32_e32 v16, vcc_lo, s7, v8, vcc_lo
	s_add_u32 s10, s10, 2
	s_addc_u32 s11, s11, 0
	s_delay_alu instid0(SALU_CYCLE_1) | instskip(SKIP_3) | instid1(VALU_DEP_2)
	s_cmp_lg_u64 s[2:3], s[10:11]
	s_waitcnt lgkmcnt(2)
	v_fmac_f32_e32 v17, v2, v5
	v_fma_f32 v5, v1, v5, 0
	v_dual_mov_b32 v12, v18 :: v_dual_fmac_f32 v17, v3, v6
	s_delay_alu instid0(VALU_DEP_2) | instskip(SKIP_1) | instid1(VALU_DEP_2)
	v_fmac_f32_e32 v5, v2, v6
	s_waitcnt lgkmcnt(1)
	v_fmac_f32_e32 v17, v4, v13
	s_delay_alu instid0(VALU_DEP_2) | instskip(NEXT) | instid1(VALU_DEP_2)
	v_fmac_f32_e32 v5, v3, v13
	v_fmac_f32_e32 v17, v10, v14
	s_delay_alu instid0(VALU_DEP_2) | instskip(NEXT) | instid1(VALU_DEP_2)
	v_fmac_f32_e32 v5, v4, v14
	v_add_f32_e32 v13, v11, v17
	s_waitcnt lgkmcnt(0)
	s_delay_alu instid0(VALU_DEP_2)
	v_fmac_f32_e32 v5, v10, v19
	global_store_b32 v[7:8], v13, off
	v_add_co_u32 v7, vcc_lo, v7, s8
	v_add_f32_e32 v5, v11, v5
	v_add_co_ci_u32_e32 v8, vcc_lo, s9, v8, vcc_lo
	global_store_b32 v[15:16], v5, off
	s_cbranch_scc1 .LBB15_45
; %bb.46:
	s_set_inst_prefetch_distance 0x2
	s_mov_b64 s[6:7], s[2:3]
.LBB15_47:
	s_and_b32 s2, s18, 1
	s_mov_b32 s3, 0
	s_delay_alu instid0(SALU_CYCLE_1)
	s_cmp_eq_u64 s[2:3], 0
	s_cbranch_scc1 .LBB15_49
; %bb.48:
	v_add_nc_u32_e32 v0, s6, v0
	s_add_u32 s2, s4, s13
	s_addc_u32 s3, s5, s12
	s_add_u32 s2, s2, s17
	s_mul_hi_i32 s1, s6, s0
	v_lshl_add_u32 v0, v0, 2, 0
	s_mul_i32 s0, s6, s0
	s_addc_u32 s3, s3, s16
	s_add_u32 s2, s2, s14
	s_addc_u32 s3, s3, s15
	ds_load_2addr_b32 v[5:6], v0 offset1:1
	ds_load_2addr_b32 v[7:8], v0 offset0:2 offset1:3
	ds_load_b32 v0, v0 offset:16
	s_lshl_b64 s[0:1], s[0:1], 2
	s_delay_alu instid0(SALU_CYCLE_1) | instskip(SKIP_3) | instid1(VALU_DEP_1)
	s_add_u32 s0, s0, s2
	s_addc_u32 s1, s1, s3
	s_waitcnt vmcnt(0) lgkmcnt(2)
	v_fma_f32 v1, v1, v5, 0
	v_fmac_f32_e32 v1, v2, v6
	s_waitcnt lgkmcnt(1)
	s_delay_alu instid0(VALU_DEP_1) | instskip(NEXT) | instid1(VALU_DEP_1)
	v_fmac_f32_e32 v1, v3, v7
	v_fmac_f32_e32 v1, v4, v8
	s_waitcnt lgkmcnt(0)
	s_delay_alu instid0(VALU_DEP_1) | instskip(NEXT) | instid1(VALU_DEP_1)
	v_fmac_f32_e32 v1, v10, v0
	v_add_f32_e32 v0, v11, v1
	global_store_b32 v9, v0, s[0:1]
.LBB15_49:
	s_nop 0
	s_sendmsg sendmsg(MSG_DEALLOC_VGPRS)
	s_endpgm
	.section	.rodata,"a",@progbits
	.p2align	6, 0x0
	.amdhsa_kernel _ZL23ssm_conv_long_token_f32ILb0ELm128ELm5ELl32EEvPKfS1_S1_iiiiPfiiil
		.amdhsa_group_segment_fixed_size 0
		.amdhsa_private_segment_fixed_size 0
		.amdhsa_kernarg_size 72
		.amdhsa_user_sgpr_count 13
		.amdhsa_user_sgpr_dispatch_ptr 0
		.amdhsa_user_sgpr_queue_ptr 0
		.amdhsa_user_sgpr_kernarg_segment_ptr 1
		.amdhsa_user_sgpr_dispatch_id 0
		.amdhsa_user_sgpr_private_segment_size 0
		.amdhsa_wavefront_size32 1
		.amdhsa_uses_dynamic_stack 0
		.amdhsa_enable_private_segment 0
		.amdhsa_system_sgpr_workgroup_id_x 1
		.amdhsa_system_sgpr_workgroup_id_y 1
		.amdhsa_system_sgpr_workgroup_id_z 1
		.amdhsa_system_sgpr_workgroup_info 0
		.amdhsa_system_vgpr_workitem_id 0
		.amdhsa_next_free_vgpr 74
		.amdhsa_next_free_sgpr 19
		.amdhsa_reserve_vcc 1
		.amdhsa_float_round_mode_32 0
		.amdhsa_float_round_mode_16_64 0
		.amdhsa_float_denorm_mode_32 3
		.amdhsa_float_denorm_mode_16_64 3
		.amdhsa_dx10_clamp 1
		.amdhsa_ieee_mode 1
		.amdhsa_fp16_overflow 0
		.amdhsa_workgroup_processor_mode 1
		.amdhsa_memory_ordered 1
		.amdhsa_forward_progress 0
		.amdhsa_shared_vgpr_count 0
		.amdhsa_exception_fp_ieee_invalid_op 0
		.amdhsa_exception_fp_denorm_src 0
		.amdhsa_exception_fp_ieee_div_zero 0
		.amdhsa_exception_fp_ieee_overflow 0
		.amdhsa_exception_fp_ieee_underflow 0
		.amdhsa_exception_fp_ieee_inexact 0
		.amdhsa_exception_int_div_zero 0
	.end_amdhsa_kernel
	.section	.text._ZL23ssm_conv_long_token_f32ILb0ELm128ELm5ELl32EEvPKfS1_S1_iiiiPfiiil,"axG",@progbits,_ZL23ssm_conv_long_token_f32ILb0ELm128ELm5ELl32EEvPKfS1_S1_iiiiPfiiil,comdat
.Lfunc_end15:
	.size	_ZL23ssm_conv_long_token_f32ILb0ELm128ELm5ELl32EEvPKfS1_S1_iiiiPfiiil, .Lfunc_end15-_ZL23ssm_conv_long_token_f32ILb0ELm128ELm5ELl32EEvPKfS1_S1_iiiiPfiiil
                                        ; -- End function
	.section	.AMDGPU.csdata,"",@progbits
; Kernel info:
; codeLenInByte = 6632
; NumSgprs: 21
; NumVgprs: 74
; ScratchSize: 0
; MemoryBound: 0
; FloatMode: 240
; IeeeMode: 1
; LDSByteSize: 0 bytes/workgroup (compile time only)
; SGPRBlocks: 2
; VGPRBlocks: 9
; NumSGPRsForWavesPerEU: 21
; NumVGPRsForWavesPerEU: 74
; Occupancy: 16
; WaveLimiterHint : 0
; COMPUTE_PGM_RSRC2:SCRATCH_EN: 0
; COMPUTE_PGM_RSRC2:USER_SGPR: 13
; COMPUTE_PGM_RSRC2:TRAP_HANDLER: 0
; COMPUTE_PGM_RSRC2:TGID_X_EN: 1
; COMPUTE_PGM_RSRC2:TGID_Y_EN: 1
; COMPUTE_PGM_RSRC2:TGID_Z_EN: 1
; COMPUTE_PGM_RSRC2:TIDIG_COMP_CNT: 0
	.section	.text._ZL12ssm_conv_f32ILb0ELm128ELm9EEvPKfS1_S1_iiiiPfiiil,"axG",@progbits,_ZL12ssm_conv_f32ILb0ELm128ELm9EEvPKfS1_S1_iiiiPfiiil,comdat
	.globl	_ZL12ssm_conv_f32ILb0ELm128ELm9EEvPKfS1_S1_iiiiPfiiil ; -- Begin function _ZL12ssm_conv_f32ILb0ELm128ELm9EEvPKfS1_S1_iiiiPfiiil
	.p2align	8
	.type	_ZL12ssm_conv_f32ILb0ELm128ELm9EEvPKfS1_S1_iiiiPfiiil,@function
_ZL12ssm_conv_f32ILb0ELm128ELm9EEvPKfS1_S1_iiiiPfiiil: ; @_ZL12ssm_conv_f32ILb0ELm128ELm9EEvPKfS1_S1_iiiiPfiiil
; %bb.0:
	s_load_b64 s[4:5], s[0:1], 0x10
	s_mov_b32 s2, s15
	s_ashr_i32 s3, s15, 31
	v_lshlrev_b32_e32 v19, 2, v0
	s_lshl_b64 s[18:19], s[2:3], 7
	s_waitcnt lgkmcnt(0)
	s_cmp_eq_u64 s[4:5], 0
	s_cbranch_scc1 .LBB16_2
; %bb.1:
	s_lshl_b64 s[6:7], s[18:19], 2
	s_delay_alu instid0(SALU_CYCLE_1)
	s_add_u32 s4, s4, s6
	s_addc_u32 s5, s5, s7
	global_load_b32 v21, v19, s[4:5]
	s_load_b64 s[12:13], s[0:1], 0x40
	s_waitcnt lgkmcnt(0)
	v_cmp_lt_i64_e64 s4, s[12:13], 1
	s_delay_alu instid0(VALU_DEP_1)
	s_and_b32 vcc_lo, exec_lo, s4
	s_cbranch_vccz .LBB16_3
	s_branch .LBB16_6
.LBB16_2:
	v_mov_b32_e32 v21, 0
	s_load_b64 s[12:13], s[0:1], 0x40
	s_waitcnt lgkmcnt(0)
	v_cmp_lt_i64_e64 s4, s[12:13], 1
	s_delay_alu instid0(VALU_DEP_1)
	s_and_b32 vcc_lo, exec_lo, s4
	s_cbranch_vccnz .LBB16_6
.LBB16_3:
	s_clause 0x1
	s_load_b128 s[8:11], s[0:1], 0x1c
	s_load_b128 s[4:7], s[0:1], 0x30
	v_alignbit_b32 v1, s3, s2, 25
	s_clause 0x1
	s_load_b64 s[16:17], s[0:1], 0x28
	s_load_b128 s[0:3], s[0:1], 0x0
	s_waitcnt lgkmcnt(0)
	s_mul_i32 s7, s14, s9
	s_ashr_i32 s9, s8, 31
	s_ashr_i32 s15, s10, 31
	s_mul_hi_u32 s22, s18, s8
	s_mul_i32 s25, s18, s9
	s_mul_hi_u32 s20, s18, s10
	s_mul_i32 s23, s19, s8
	s_mul_i32 s6, s14, s6
	;; [unrolled: 1-line block ×3, first 2 shown]
	s_add_i32 s22, s22, s25
	s_ashr_i32 s21, s10, 2
	s_ashr_i32 s14, s7, 31
	;; [unrolled: 1-line block ×3, first 2 shown]
	s_add_i32 s25, s20, s15
	s_add_i32 s20, s22, s23
	s_add_u32 s22, s16, s6
	s_addc_u32 s23, s17, s9
	s_ashr_i32 s15, s4, 31
	s_mul_hi_u32 s24, s18, s4
	s_mul_i32 s15, s18, s15
	s_mul_i32 s19, s19, s4
	s_add_i32 s15, s24, s15
	s_mul_i32 s4, s18, s4
	s_add_i32 s15, s15, s19
	s_add_u32 s22, s22, s4
	s_addc_u32 s23, s23, s15
	v_mul_lo_u32 v3, v1, s10
	s_mul_i32 s11, s18, s8
	v_mul_lo_u32 v1, s21, v0
	s_add_u32 s19, s0, s7
	s_addc_u32 s21, s1, s14
	s_add_u32 s19, s19, s11
	s_addc_u32 s21, s21, s20
	s_ashr_i32 s8, s8, 2
	v_add_nc_u32_e32 v4, s25, v3
	v_mul_lo_u32 v0, s8, v0
	v_ashrrev_i32_e32 v2, 31, v1
	s_mul_i32 s8, s18, s10
	s_cmp_eq_u64 s[12:13], 1
	v_add_co_u32 v5, vcc_lo, s2, s8
	s_delay_alu instid0(VALU_DEP_2) | instskip(SKIP_2) | instid1(VALU_DEP_3)
	v_lshlrev_b64 v[2:3], 2, v[1:2]
	v_add_co_ci_u32_e32 v4, vcc_lo, s3, v4, vcc_lo
	v_ashrrev_i32_e32 v1, 31, v0
	v_add_co_u32 v22, vcc_lo, v5, v2
	s_delay_alu instid0(VALU_DEP_2) | instskip(NEXT) | instid1(VALU_DEP_4)
	v_lshlrev_b64 v[17:18], 2, v[0:1]
	v_add_co_ci_u32_e32 v23, vcc_lo, v4, v3, vcc_lo
	s_delay_alu instid0(VALU_DEP_2) | instskip(NEXT) | instid1(VALU_DEP_3)
	v_add_co_u32 v24, vcc_lo, s19, v17
	v_add_co_ci_u32_e32 v25, vcc_lo, s21, v18, vcc_lo
	global_load_b128 v[9:12], v[22:23], off
	global_load_b128 v[0:3], v[24:25], off
	global_load_b128 v[13:16], v[22:23], off offset:16
	global_load_b128 v[4:7], v[24:25], off offset:16
	global_load_b32 v22, v[22:23], off offset:32
	global_load_b32 v8, v[24:25], off offset:32
	s_waitcnt vmcnt(4)
	v_fma_f32 v20, v9, v0, 0
	s_delay_alu instid0(VALU_DEP_1) | instskip(NEXT) | instid1(VALU_DEP_1)
	v_fmac_f32_e32 v20, v10, v1
	v_fmac_f32_e32 v20, v11, v2
	s_delay_alu instid0(VALU_DEP_1) | instskip(SKIP_1) | instid1(VALU_DEP_1)
	v_fmac_f32_e32 v20, v12, v3
	s_waitcnt vmcnt(2)
	v_fmac_f32_e32 v20, v13, v4
	s_delay_alu instid0(VALU_DEP_1) | instskip(NEXT) | instid1(VALU_DEP_1)
	v_fmac_f32_e32 v20, v14, v5
	v_fmac_f32_e32 v20, v15, v6
	s_delay_alu instid0(VALU_DEP_1) | instskip(SKIP_1) | instid1(VALU_DEP_1)
	v_fmac_f32_e32 v20, v16, v7
	s_waitcnt vmcnt(0)
	v_fmac_f32_e32 v20, v22, v8
	s_delay_alu instid0(VALU_DEP_1)
	v_add_f32_e32 v20, v21, v20
	global_store_b32 v19, v20, s[22:23]
	s_cbranch_scc1 .LBB16_6
; %bb.4:
	s_ashr_i32 s2, s5, 2
	s_mov_b64 s[18:19], 4
	s_ashr_i32 s3, s2, 31
	s_add_u32 s0, s0, s7
	s_addc_u32 s1, s1, s14
	s_add_u32 s0, s0, s11
	s_addc_u32 s1, s1, s20
	v_add_co_u32 v17, vcc_lo, s0, v17
	s_add_u32 s0, s12, -1
	v_add_co_ci_u32_e32 v18, vcc_lo, s1, v18, vcc_lo
	s_addc_u32 s1, s13, -1
	s_lshl_b64 s[2:3], s[2:3], 2
	v_add_co_u32 v17, vcc_lo, v17, 36
	s_add_u32 s4, s4, s2
	s_addc_u32 s5, s15, s3
	s_add_u32 s6, s16, s6
	s_addc_u32 s7, s17, s9
	;; [unrolled: 2-line block ×3, first 2 shown]
	v_add_co_u32 v19, s4, s4, v19
	v_add_co_ci_u32_e32 v18, vcc_lo, 0, v18, vcc_lo
	v_add_co_ci_u32_e64 v20, null, s5, 0, s4
	s_mov_b64 s[4:5], 1
	s_mov_b64 s[6:7], 0
	;; [unrolled: 1-line block ×9, first 2 shown]
.LBB16_5:                               ; =>This Inner Loop Header: Depth=1
	s_add_u32 s24, 0, 0x71c4fc00
	s_addc_u32 s25, 0, 0x7c
	s_mul_hi_u32 s27, s24, -9
	s_add_i32 s25, s25, 0x1c71c6a0
	s_sub_i32 s27, s27, s24
	s_mul_i32 s30, s25, -9
	s_mul_i32 s26, s24, -9
	s_add_i32 s27, s27, s30
	s_mul_hi_u32 s28, s24, s26
	s_mul_i32 s31, s24, s27
	s_mul_hi_u32 s30, s24, s27
	s_mul_hi_u32 s29, s25, s26
	s_mul_i32 s26, s25, s26
	s_add_u32 s28, s28, s31
	s_addc_u32 s30, 0, s30
	s_mul_hi_u32 s33, s25, s27
	s_add_u32 s26, s28, s26
	s_mul_i32 s27, s25, s27
	s_addc_u32 s26, s30, s29
	s_addc_u32 s28, s33, 0
	s_add_u32 s26, s26, s27
	s_addc_u32 s27, 0, s28
	v_add_co_u32 v24, s24, s24, s26
	s_delay_alu instid0(VALU_DEP_1)
	s_cmp_lg_u32 s24, 0
	global_load_b32 v23, v[17:18], off
	s_addc_u32 s25, s25, s27
	v_readfirstlane_b32 s33, v24
	s_mul_i32 s37, s4, s25
	s_mul_hi_u32 s36, s4, s25
	s_mul_hi_u32 s49, s5, s25
	s_mul_i32 s60, s5, s25
	s_mul_hi_u32 s77, s4, s33
	s_mul_i32 s79, s5, s33
	s_add_u32 s37, s77, s37
	s_mul_hi_u32 s78, s5, s33
	s_addc_u32 s36, 0, s36
	s_add_u32 s37, s37, s79
	s_addc_u32 s36, s36, s78
	s_addc_u32 s37, s49, 0
	s_add_u32 s36, s36, s60
	s_addc_u32 s37, 0, s37
	s_mul_i32 s60, s36, 9
	s_mul_hi_u32 s49, s36, 9
	s_mul_i32 s37, s37, 9
	v_sub_co_u32 v24, s60, s4, s60
	s_add_i32 s49, s49, s37
	s_cmp_lg_u32 s60, 0
	s_mul_i32 s62, s8, s25
	s_subb_u32 s37, s5, s49
	v_sub_co_u32 v25, s49, v24, 9
	s_delay_alu instid0(VALU_DEP_1) | instskip(SKIP_2) | instid1(VALU_DEP_2)
	s_cmp_lg_u32 s49, 0
	v_readfirstlane_b32 s60, v24
	s_subb_u32 s49, s37, 0
	v_readfirstlane_b32 s77, v25
	s_mul_hi_u32 s80, s8, s33
	s_mul_hi_u32 s61, s8, s25
	s_mul_i32 s82, s9, s33
	s_mul_hi_u32 s81, s9, s33
	s_cmp_gt_u32 s77, 8
	s_mul_hi_u32 s63, s9, s25
	s_cselect_b32 s77, -1, 0
	s_cmp_eq_u32 s49, 0
	s_mul_i32 s64, s9, s25
	s_cselect_b32 s49, s77, -1
	s_add_i32 s77, s36, 1
	s_add_i32 s78, s36, 2
	s_cmp_lg_u32 s49, 0
	s_mul_i32 s66, s10, s25
	s_cselect_b32 s49, s78, s77
	s_cmp_gt_u32 s60, 8
	s_mul_hi_u32 s83, s10, s33
	s_cselect_b32 s60, -1, 0
	s_cmp_eq_u32 s37, 0
	s_mul_hi_u32 s65, s10, s25
	s_cselect_b32 s37, s60, -1
	s_mul_i32 s85, s11, s33
	s_cmp_lg_u32 s37, 0
	s_mul_hi_u32 s84, s11, s33
	s_cselect_b32 s36, s49, s36
	s_add_u32 s37, s80, s62
	s_addc_u32 s49, 0, s61
	s_add_u32 s37, s37, s82
	s_addc_u32 s37, s49, s81
	s_addc_u32 s49, s63, 0
	s_add_u32 s37, s37, s64
	s_addc_u32 s49, 0, s49
	s_mul_i32 s61, s37, 9
	s_mul_hi_u32 s60, s37, 9
	s_mul_i32 s49, s49, 9
	v_sub_co_u32 v24, s61, s8, s61
	s_add_i32 s60, s60, s49
	s_cmp_lg_u32 s61, 0
	s_mul_hi_u32 s67, s11, s25
	s_subb_u32 s49, s9, s60
	v_sub_co_u32 v25, s60, v24, 9
	s_delay_alu instid0(VALU_DEP_1) | instskip(SKIP_2) | instid1(VALU_DEP_2)
	s_cmp_lg_u32 s60, 0
	v_readfirstlane_b32 s61, v24
	s_subb_u32 s60, s49, 0
	v_readfirstlane_b32 s62, v25
	s_mul_i32 s68, s11, s25
	s_mul_i32 s70, s12, s25
	s_mul_hi_u32 s86, s12, s33
	s_mul_hi_u32 s69, s12, s25
	s_cmp_gt_u32 s62, 8
	s_mul_i32 s88, s13, s33
	s_cselect_b32 s62, -1, 0
	s_cmp_eq_u32 s60, 0
	s_mul_hi_u32 s87, s13, s33
	s_cselect_b32 s60, s62, -1
	s_add_i32 s62, s37, 1
	s_add_i32 s63, s37, 2
	s_cmp_lg_u32 s60, 0
	s_mul_hi_u32 s71, s13, s25
	s_cselect_b32 s60, s63, s62
	s_cmp_gt_u32 s61, 8
	s_mul_i32 s72, s13, s25
	s_cselect_b32 s61, -1, 0
	s_cmp_eq_u32 s49, 0
	s_mul_i32 s74, s14, s25
	s_cselect_b32 s49, s61, -1
	s_mul_hi_u32 s89, s14, s33
	s_cmp_lg_u32 s49, 0
	s_mul_hi_u32 s73, s14, s25
	s_cselect_b32 s37, s60, s37
	s_add_u32 s49, s83, s66
	s_addc_u32 s60, 0, s65
	s_add_u32 s49, s49, s85
	s_addc_u32 s49, s60, s84
	s_addc_u32 s60, s67, 0
	s_add_u32 s49, s49, s68
	s_addc_u32 s60, 0, s60
	s_mul_i32 s62, s49, 9
	s_mul_hi_u32 s61, s49, 9
	s_mul_i32 s60, s60, 9
	v_sub_co_u32 v24, s62, s10, s62
	s_add_i32 s61, s61, s60
	s_cmp_lg_u32 s62, 0
	s_mul_i32 s91, s15, s33
	s_subb_u32 s60, s11, s61
	v_sub_co_u32 v25, s61, v24, 9
	s_delay_alu instid0(VALU_DEP_1) | instskip(SKIP_2) | instid1(VALU_DEP_2)
	s_cmp_lg_u32 s61, 0
	v_readfirstlane_b32 s62, v24
	s_subb_u32 s61, s60, 0
	v_readfirstlane_b32 s63, v25
	s_mul_hi_u32 s90, s15, s33
	s_mul_hi_u32 s75, s15, s25
	s_mul_i32 s76, s15, s25
	s_mul_i32 s56, s16, s25
	s_cmp_gt_u32 s63, 8
	s_mul_hi_u32 s92, s16, s33
	s_cselect_b32 s63, -1, 0
	s_cmp_eq_u32 s61, 0
	s_mul_hi_u32 s55, s16, s25
	s_cselect_b32 s61, s63, -1
	s_add_i32 s63, s49, 1
	s_add_i32 s64, s49, 2
	s_cmp_lg_u32 s61, 0
	s_mul_i32 s94, s17, s33
	s_cselect_b32 s61, s64, s63
	s_cmp_gt_u32 s62, 8
	s_mul_hi_u32 s93, s17, s33
	s_cselect_b32 s62, -1, 0
	s_cmp_eq_u32 s60, 0
	s_mul_hi_u32 s53, s17, s25
	s_cselect_b32 s60, s62, -1
	s_mul_i32 s54, s17, s25
	s_cmp_lg_u32 s60, 0
	s_mul_i32 s50, s18, s25
	s_cselect_b32 s49, s61, s49
	s_add_u32 s60, s86, s70
	s_addc_u32 s61, 0, s69
	s_add_u32 s60, s60, s88
	s_addc_u32 s60, s61, s87
	s_addc_u32 s61, s71, 0
	s_add_u32 s60, s60, s72
	s_addc_u32 s61, 0, s61
	s_mul_i32 s63, s60, 9
	s_mul_hi_u32 s62, s60, 9
	s_mul_i32 s61, s61, 9
	v_sub_co_u32 v24, s63, s12, s63
	s_add_i32 s62, s62, s61
	s_cmp_lg_u32 s63, 0
	s_mul_hi_u32 s59, s18, s33
	s_subb_u32 s61, s13, s62
	v_sub_co_u32 v25, s62, v24, 9
	s_delay_alu instid0(VALU_DEP_1) | instskip(SKIP_2) | instid1(VALU_DEP_2)
	s_cmp_lg_u32 s62, 0
	v_readfirstlane_b32 s63, v24
	s_subb_u32 s62, s61, 0
	v_readfirstlane_b32 s64, v25
	s_mul_hi_u32 s47, s18, s25
	s_mul_i32 s58, s19, s33
	s_mul_hi_u32 s57, s19, s33
	s_mul_hi_u32 s45, s19, s25
	s_cmp_gt_u32 s64, 8
	s_mul_i32 s46, s19, s25
	s_cselect_b32 s64, -1, 0
	s_cmp_eq_u32 s62, 0
	s_mul_i32 s42, s20, s25
	s_cselect_b32 s62, s64, -1
	s_add_i32 s64, s60, 1
	s_add_i32 s65, s60, 2
	s_cmp_lg_u32 s62, 0
	s_mul_hi_u32 s52, s20, s33
	s_cselect_b32 s62, s65, s64
	s_cmp_gt_u32 s63, 8
	s_mul_hi_u32 s40, s20, s25
	s_cselect_b32 s63, -1, 0
	s_cmp_eq_u32 s61, 0
	s_mul_i32 s51, s21, s33
	s_cselect_b32 s61, s63, -1
	s_mul_hi_u32 s48, s21, s33
	s_cmp_lg_u32 s61, 0
	s_mul_hi_u32 s38, s21, s25
	s_cselect_b32 s60, s62, s60
	s_add_u32 s61, s89, s74
	s_addc_u32 s62, 0, s73
	s_add_u32 s61, s61, s91
	s_addc_u32 s61, s62, s90
	s_addc_u32 s62, s75, 0
	s_add_u32 s61, s61, s76
	s_addc_u32 s62, 0, s62
	s_mul_i32 s64, s61, 9
	s_mul_hi_u32 s63, s61, 9
	s_mul_i32 s62, s62, 9
	v_sub_co_u32 v24, s64, s14, s64
	s_add_i32 s63, s63, s62
	s_cmp_lg_u32 s64, 0
	s_mul_i32 s39, s21, s25
	s_subb_u32 s62, s15, s63
	v_sub_co_u32 v25, s63, v24, 9
	s_delay_alu instid0(VALU_DEP_1) | instskip(SKIP_2) | instid1(VALU_DEP_2)
	s_cmp_lg_u32 s63, 0
	v_readfirstlane_b32 s64, v24
	s_subb_u32 s63, s62, 0
	v_readfirstlane_b32 s65, v25
	s_mul_i32 s34, s22, s25
	s_mul_hi_u32 s44, s22, s33
	s_mul_hi_u32 s31, s22, s25
	s_mul_i32 s43, s23, s33
	s_cmp_gt_u32 s65, 8
	s_mul_hi_u32 s41, s23, s33
	s_cselect_b32 s65, -1, 0
	s_cmp_eq_u32 s63, 0
	s_mul_hi_u32 s28, s23, s25
	s_cselect_b32 s63, s65, -1
	s_add_i32 s65, s61, 1
	s_add_i32 s66, s61, 2
	s_cmp_lg_u32 s63, 0
	s_mul_i32 s29, s23, s25
	s_cselect_b32 s63, s66, s65
	s_cmp_gt_u32 s64, 8
	s_mul_i32 s27, s6, s25
	s_cselect_b32 s64, -1, 0
	s_cmp_eq_u32 s62, 0
	s_mul_hi_u32 s35, s6, s33
	s_cselect_b32 s62, s64, -1
	s_mul_hi_u32 s26, s6, s25
	s_cmp_lg_u32 s62, 0
	s_mul_hi_u32 s30, s7, s33
	s_cselect_b32 s61, s63, s61
	s_add_u32 s56, s92, s56
	s_addc_u32 s55, 0, s55
	s_add_u32 s56, s56, s94
	s_addc_u32 s55, s55, s93
	s_addc_u32 s53, s53, 0
	s_add_u32 s54, s55, s54
	s_addc_u32 s53, 0, s53
	s_mul_i32 s56, s54, 9
	s_mul_hi_u32 s55, s54, 9
	s_mul_i32 s53, s53, 9
	v_sub_co_u32 v24, s56, s16, s56
	s_add_i32 s55, s55, s53
	s_cmp_lg_u32 s56, 0
	s_mul_i32 s33, s7, s33
	s_subb_u32 s53, s17, s55
	v_sub_co_u32 v25, s55, v24, 9
	s_delay_alu instid0(VALU_DEP_1) | instskip(SKIP_2) | instid1(VALU_DEP_2)
	s_cmp_lg_u32 s55, 0
	v_readfirstlane_b32 s56, v24
	s_subb_u32 s55, s53, 0
	v_readfirstlane_b32 s62, v25
	s_mul_hi_u32 s24, s7, s25
	s_mul_i32 s25, s7, s25
	s_mul_i32 s36, s36, 9
	;; [unrolled: 1-line block ×3, first 2 shown]
	s_cmp_gt_u32 s62, 8
	s_mul_i32 s60, s60, 9
	s_cselect_b32 s62, -1, 0
	s_cmp_eq_u32 s55, 0
	s_mul_i32 s49, s49, 9
	s_cselect_b32 s55, s62, -1
	s_add_i32 s62, s54, 1
	s_add_i32 s63, s54, 2
	s_cmp_lg_u32 s55, 0
	s_mul_i32 s37, s37, 9
	s_cselect_b32 s55, s63, s62
	s_cmp_gt_u32 s56, 8
	v_add_co_u32 v17, vcc_lo, v17, 4
	s_cselect_b32 s56, -1, 0
	s_cmp_eq_u32 s53, 0
	v_add_co_ci_u32_e32 v18, vcc_lo, 0, v18, vcc_lo
	s_cselect_b32 s53, s56, -1
	s_delay_alu instid0(SALU_CYCLE_1)
	s_cmp_lg_u32 s53, 0
	s_cselect_b32 s53, s55, s54
	s_add_u32 s50, s59, s50
	s_addc_u32 s47, 0, s47
	s_add_u32 s50, s50, s58
	s_addc_u32 s47, s47, s57
	s_addc_u32 s45, s45, 0
	s_add_u32 s46, s47, s46
	s_addc_u32 s45, 0, s45
	s_mul_i32 s50, s46, 9
	s_mul_hi_u32 s47, s46, 9
	s_mul_i32 s45, s45, 9
	v_sub_co_u32 v24, s50, s18, s50
	s_add_i32 s47, s47, s45
	s_cmp_lg_u32 s50, 0
	s_mul_i32 s53, s53, 9
	s_subb_u32 s45, s19, s47
	v_sub_co_u32 v25, s47, v24, 9
	s_delay_alu instid0(VALU_DEP_1) | instskip(SKIP_2) | instid1(VALU_DEP_2)
	s_cmp_lg_u32 s47, 0
	v_readfirstlane_b32 s50, v24
	s_subb_u32 s47, s45, 0
	v_readfirstlane_b32 s54, v25
	s_delay_alu instid0(VALU_DEP_1)
	s_cmp_gt_u32 s54, 8
	s_cselect_b32 s54, -1, 0
	s_cmp_eq_u32 s47, 0
	s_cselect_b32 s47, s54, -1
	s_add_i32 s54, s46, 1
	s_add_i32 s55, s46, 2
	s_cmp_lg_u32 s47, 0
	s_cselect_b32 s47, s55, s54
	s_cmp_gt_u32 s50, 8
	s_cselect_b32 s50, -1, 0
	s_cmp_eq_u32 s45, 0
	s_cselect_b32 s45, s50, -1
	s_delay_alu instid0(SALU_CYCLE_1)
	s_cmp_lg_u32 s45, 0
	s_cselect_b32 s45, s47, s46
	s_add_u32 s42, s52, s42
	s_addc_u32 s40, 0, s40
	s_add_u32 s42, s42, s51
	s_addc_u32 s40, s40, s48
	s_addc_u32 s38, s38, 0
	s_add_u32 s39, s40, s39
	s_addc_u32 s38, 0, s38
	s_mul_i32 s42, s39, 9
	s_mul_hi_u32 s40, s39, 9
	s_mul_i32 s38, s38, 9
	v_sub_co_u32 v24, s42, s20, s42
	s_add_i32 s40, s40, s38
	s_cmp_lg_u32 s42, 0
	s_mul_i32 s45, s45, 9
	s_subb_u32 s38, s21, s40
	v_sub_co_u32 v25, s40, v24, 9
	s_delay_alu instid0(VALU_DEP_1) | instskip(SKIP_2) | instid1(VALU_DEP_2)
	s_cmp_lg_u32 s40, 0
	v_readfirstlane_b32 s42, v24
	s_subb_u32 s40, s38, 0
	v_readfirstlane_b32 s46, v25
	s_delay_alu instid0(VALU_DEP_1)
	s_cmp_gt_u32 s46, 8
	s_cselect_b32 s46, -1, 0
	s_cmp_eq_u32 s40, 0
	s_cselect_b32 s40, s46, -1
	s_add_i32 s46, s39, 1
	s_add_i32 s47, s39, 2
	s_cmp_lg_u32 s40, 0
	s_cselect_b32 s40, s47, s46
	s_cmp_gt_u32 s42, 8
	s_cselect_b32 s42, -1, 0
	s_cmp_eq_u32 s38, 0
	s_cselect_b32 s38, s42, -1
	s_delay_alu instid0(SALU_CYCLE_1)
	s_cmp_lg_u32 s38, 0
	s_cselect_b32 s38, s40, s39
	s_add_u32 s34, s44, s34
	s_addc_u32 s31, 0, s31
	s_add_u32 s34, s34, s43
	s_addc_u32 s31, s31, s41
	s_addc_u32 s28, s28, 0
	s_add_u32 s29, s31, s29
	s_addc_u32 s28, 0, s28
	s_mul_i32 s34, s29, 9
	s_mul_hi_u32 s31, s29, 9
	s_mul_i32 s28, s28, 9
	v_sub_co_u32 v24, s34, s22, s34
	s_add_i32 s31, s31, s28
	s_cmp_lg_u32 s34, 0
	s_mul_i32 s38, s38, 9
	s_subb_u32 s28, s23, s31
	v_sub_co_u32 v25, s31, v24, 9
	s_delay_alu instid0(VALU_DEP_1) | instskip(SKIP_2) | instid1(VALU_DEP_2)
	s_cmp_lg_u32 s31, 0
	v_readfirstlane_b32 s34, v24
	s_subb_u32 s31, s28, 0
	v_readfirstlane_b32 s39, v25
	s_delay_alu instid0(VALU_DEP_1)
	s_cmp_gt_u32 s39, 8
	s_cselect_b32 s39, -1, 0
	s_cmp_eq_u32 s31, 0
	s_cselect_b32 s31, s39, -1
	s_add_i32 s39, s29, 1
	s_add_i32 s40, s29, 2
	s_cmp_lg_u32 s31, 0
	s_cselect_b32 s31, s40, s39
	s_cmp_gt_u32 s34, 8
	s_cselect_b32 s34, -1, 0
	s_cmp_eq_u32 s28, 0
	s_cselect_b32 s28, s34, -1
	s_delay_alu instid0(SALU_CYCLE_1)
	s_cmp_lg_u32 s28, 0
	s_cselect_b32 s28, s31, s29
	s_add_u32 s27, s35, s27
	s_addc_u32 s26, 0, s26
	s_add_u32 s27, s27, s33
	s_addc_u32 s26, s26, s30
	s_addc_u32 s24, s24, 0
	s_add_u32 s25, s26, s25
	s_addc_u32 s24, 0, s24
	s_mul_i32 s27, s25, 9
	s_mul_hi_u32 s26, s25, 9
	s_mul_i32 s24, s24, 9
	v_sub_co_u32 v24, s27, s6, s27
	s_add_i32 s26, s26, s24
	s_cmp_lg_u32 s27, 0
	s_mul_i32 s28, s28, 9
	s_subb_u32 s24, s7, s26
	v_sub_co_u32 v25, s26, v24, 9
	s_delay_alu instid0(VALU_DEP_1) | instskip(SKIP_2) | instid1(VALU_DEP_2)
	s_cmp_lg_u32 s26, 0
	v_readfirstlane_b32 s27, v24
	s_subb_u32 s26, s24, 0
	v_readfirstlane_b32 s29, v25
	s_delay_alu instid0(VALU_DEP_1)
	s_cmp_gt_u32 s29, 8
	s_cselect_b32 s29, -1, 0
	s_cmp_eq_u32 s26, 0
	s_cselect_b32 s26, s29, -1
	s_add_i32 s29, s25, 1
	s_add_i32 s30, s25, 2
	s_cmp_lg_u32 s26, 0
	s_cselect_b32 s26, s30, s29
	s_cmp_gt_u32 s27, 8
	s_cselect_b32 s27, -1, 0
	s_cmp_eq_u32 s24, 0
	s_cselect_b32 s24, s27, -1
	s_delay_alu instid0(SALU_CYCLE_1)
	s_cmp_lg_u32 s24, 0
	s_cselect_b32 s24, s26, s25
	s_sub_i32 s25, s6, s36
	s_mul_i32 s24, s24, -9
	s_add_i32 s25, s25, 1
	s_add_i32 s24, s6, s24
	s_add_u32 s4, s4, 1
	s_mov_b32 m0, s24
	s_addc_u32 s5, s5, 0
	s_waitcnt vmcnt(0)
	v_movreld_b32_e32 v0, v23
	s_mov_b32 m0, s25
	s_sub_i32 s26, s6, s28
	v_movrels_b32_e32 v23, v0
	s_add_i32 s26, s26, 2
	s_sub_i32 s27, s6, s38
	s_mov_b32 m0, s26
	s_add_i32 s27, s27, 3
	v_movrels_b32_e32 v24, v0
	v_fma_f32 v23, v9, v23, 0
	s_mov_b32 m0, s27
	s_sub_i32 s28, s6, s45
	v_movrels_b32_e32 v25, v0
	s_add_i32 s28, s28, 4
	v_fmac_f32_e32 v23, v10, v24
	s_mov_b32 m0, s28
	s_sub_i32 s29, s6, s53
	v_movrels_b32_e32 v26, v0
	s_add_i32 s29, s29, 5
	v_fmac_f32_e32 v23, v11, v25
	s_mov_b32 m0, s29
	s_sub_i32 s30, s6, s61
	v_movrels_b32_e32 v27, v0
	s_add_i32 s30, s30, 6
	v_fmac_f32_e32 v23, v12, v26
	s_mov_b32 m0, s30
	s_sub_i32 s31, s6, s60
	v_movrels_b32_e32 v24, v0
	s_add_i32 s31, s31, 7
	v_fmac_f32_e32 v23, v13, v27
	s_mov_b32 m0, s31
	s_sub_i32 s33, s6, s49
	v_movrels_b32_e32 v28, v0
	s_add_i32 s33, s33, 8
	v_fmac_f32_e32 v23, v14, v24
	s_mov_b32 m0, s33
	s_sub_i32 s34, s6, s37
	v_movrels_b32_e32 v29, v0
	s_add_i32 s34, s34, 9
	v_fmac_f32_e32 v23, v15, v28
	s_mov_b32 m0, s34
	s_add_u32 s6, s6, 1
	v_movrels_b32_e32 v25, v0
	s_addc_u32 s7, s7, 0
	v_fmac_f32_e32 v23, v16, v29
	s_add_u32 s8, s8, 1
	s_addc_u32 s9, s9, 0
	s_add_u32 s10, s10, 1
	s_addc_u32 s11, s11, 0
	v_fmac_f32_e32 v23, v22, v25
	s_add_u32 s12, s12, 1
	s_addc_u32 s13, s13, 0
	s_add_u32 s14, s14, 1
	s_addc_u32 s15, s15, 0
	v_add_f32_e32 v23, v21, v23
	s_add_u32 s16, s16, 1
	s_addc_u32 s17, s17, 0
	s_add_u32 s18, s18, 1
	s_addc_u32 s19, s19, 0
	global_store_b32 v[19:20], v23, off
	v_add_co_u32 v19, vcc_lo, v19, s2
	s_add_u32 s20, s20, 1
	s_addc_u32 s21, s21, 0
	v_add_co_ci_u32_e32 v20, vcc_lo, s3, v20, vcc_lo
	s_add_u32 s22, s22, 1
	s_addc_u32 s23, s23, 0
	s_cmp_eq_u64 s[0:1], s[6:7]
	s_cbranch_scc0 .LBB16_5
.LBB16_6:
	s_nop 0
	s_sendmsg sendmsg(MSG_DEALLOC_VGPRS)
	s_endpgm
	.section	.rodata,"a",@progbits
	.p2align	6, 0x0
	.amdhsa_kernel _ZL12ssm_conv_f32ILb0ELm128ELm9EEvPKfS1_S1_iiiiPfiiil
		.amdhsa_group_segment_fixed_size 0
		.amdhsa_private_segment_fixed_size 0
		.amdhsa_kernarg_size 72
		.amdhsa_user_sgpr_count 14
		.amdhsa_user_sgpr_dispatch_ptr 0
		.amdhsa_user_sgpr_queue_ptr 0
		.amdhsa_user_sgpr_kernarg_segment_ptr 1
		.amdhsa_user_sgpr_dispatch_id 0
		.amdhsa_user_sgpr_private_segment_size 0
		.amdhsa_wavefront_size32 1
		.amdhsa_uses_dynamic_stack 0
		.amdhsa_enable_private_segment 0
		.amdhsa_system_sgpr_workgroup_id_x 1
		.amdhsa_system_sgpr_workgroup_id_y 1
		.amdhsa_system_sgpr_workgroup_id_z 0
		.amdhsa_system_sgpr_workgroup_info 0
		.amdhsa_system_vgpr_workitem_id 0
		.amdhsa_next_free_vgpr 30
		.amdhsa_next_free_sgpr 95
		.amdhsa_reserve_vcc 1
		.amdhsa_float_round_mode_32 0
		.amdhsa_float_round_mode_16_64 0
		.amdhsa_float_denorm_mode_32 3
		.amdhsa_float_denorm_mode_16_64 3
		.amdhsa_dx10_clamp 1
		.amdhsa_ieee_mode 1
		.amdhsa_fp16_overflow 0
		.amdhsa_workgroup_processor_mode 1
		.amdhsa_memory_ordered 1
		.amdhsa_forward_progress 0
		.amdhsa_shared_vgpr_count 0
		.amdhsa_exception_fp_ieee_invalid_op 0
		.amdhsa_exception_fp_denorm_src 0
		.amdhsa_exception_fp_ieee_div_zero 0
		.amdhsa_exception_fp_ieee_overflow 0
		.amdhsa_exception_fp_ieee_underflow 0
		.amdhsa_exception_fp_ieee_inexact 0
		.amdhsa_exception_int_div_zero 0
	.end_amdhsa_kernel
	.section	.text._ZL12ssm_conv_f32ILb0ELm128ELm9EEvPKfS1_S1_iiiiPfiiil,"axG",@progbits,_ZL12ssm_conv_f32ILb0ELm128ELm9EEvPKfS1_S1_iiiiPfiiil,comdat
.Lfunc_end16:
	.size	_ZL12ssm_conv_f32ILb0ELm128ELm9EEvPKfS1_S1_iiiiPfiiil, .Lfunc_end16-_ZL12ssm_conv_f32ILb0ELm128ELm9EEvPKfS1_S1_iiiiPfiiil
                                        ; -- End function
	.section	.AMDGPU.csdata,"",@progbits
; Kernel info:
; codeLenInByte = 2960
; NumSgprs: 97
; NumVgprs: 30
; ScratchSize: 0
; MemoryBound: 0
; FloatMode: 240
; IeeeMode: 1
; LDSByteSize: 0 bytes/workgroup (compile time only)
; SGPRBlocks: 12
; VGPRBlocks: 3
; NumSGPRsForWavesPerEU: 97
; NumVGPRsForWavesPerEU: 30
; Occupancy: 16
; WaveLimiterHint : 0
; COMPUTE_PGM_RSRC2:SCRATCH_EN: 0
; COMPUTE_PGM_RSRC2:USER_SGPR: 14
; COMPUTE_PGM_RSRC2:TRAP_HANDLER: 0
; COMPUTE_PGM_RSRC2:TGID_X_EN: 1
; COMPUTE_PGM_RSRC2:TGID_Y_EN: 1
; COMPUTE_PGM_RSRC2:TGID_Z_EN: 0
; COMPUTE_PGM_RSRC2:TIDIG_COMP_CNT: 0
	.section	.text._ZL23ssm_conv_long_token_f32ILb0ELm128ELm9ELl32EEvPKfS1_S1_iiiiPfiiil,"axG",@progbits,_ZL23ssm_conv_long_token_f32ILb0ELm128ELm9ELl32EEvPKfS1_S1_iiiiPfiiil,comdat
	.globl	_ZL23ssm_conv_long_token_f32ILb0ELm128ELm9ELl32EEvPKfS1_S1_iiiiPfiiil ; -- Begin function _ZL23ssm_conv_long_token_f32ILb0ELm128ELm9ELl32EEvPKfS1_S1_iiiiPfiiil
	.p2align	8
	.type	_ZL23ssm_conv_long_token_f32ILb0ELm128ELm9ELl32EEvPKfS1_S1_iiiiPfiiil,@function
_ZL23ssm_conv_long_token_f32ILb0ELm128ELm9ELl32EEvPKfS1_S1_iiiiPfiiil: ; @_ZL23ssm_conv_long_token_f32ILb0ELm128ELm9ELl32EEvPKfS1_S1_iiiiPfiiil
; %bb.0:
	v_mul_u32_u24_e32 v1, 0x667, v0
	s_clause 0x1
	s_load_b128 s[4:7], s[0:1], 0x18
	s_load_b64 s[2:3], s[0:1], 0x0
	s_mov_b32 s8, s15
	v_lshrrev_b32_e32 v15, 16, v1
	s_delay_alu instid0(VALU_DEP_1) | instskip(NEXT) | instid1(VALU_DEP_1)
	v_mul_lo_u16 v1, v15, 40
	v_sub_nc_u16 v3, v0, v1
	s_delay_alu instid0(VALU_DEP_1)
	v_or_b32_e32 v1, 0x80, v3
	s_waitcnt lgkmcnt(0)
	s_mul_i32 s6, s13, s6
	v_and_b32_e32 v14, 0xffff, v3
	s_ashr_i32 s9, s6, 31
	s_add_u32 s10, s2, s6
	v_mul_lo_u16 v2, 0xcd, v1
	s_addc_u32 s11, s3, s9
	s_ashr_i32 s15, s14, 31
	s_ashr_i32 s9, s8, 31
	v_alignbit_b32 v6, s15, s14, 25
	v_lshrrev_b16 v9, 13, v2
	s_ashr_i32 s6, s5, 2
	v_alignbit_b32 v7, s9, s8, 27
	s_ashr_i32 s12, s5, 31
	v_mul_lo_u32 v6, v6, s5
	v_mul_lo_u16 v2, v9, 40
	s_lshl_b64 s[2:3], s[14:15], 7
	s_lshl_b64 s[14:15], s[8:9], 5
	s_mul_i32 s8, s2, s12
	s_mul_hi_u32 s9, s2, s5
	v_sub_nc_u16 v1, v1, v2
	v_mul_lo_u32 v7, v7, s4
	s_add_i32 s9, s9, s8
	s_ashr_i32 s16, s4, 31
	v_add_nc_u32_e32 v6, s9, v6
	v_and_b32_e32 v10, 0xff, v1
	s_mul_i32 s12, s2, s5
	s_mul_i32 s16, s14, s16
	s_mul_hi_u32 s5, s14, s4
	v_add_co_u32 v12, vcc_lo, s10, s12
	v_or_b32_e32 v1, 0x80, v10
	s_add_i32 s5, s5, s16
	v_add_co_ci_u32_e32 v6, vcc_lo, s11, v6, vcc_lo
	v_add_nc_u32_e32 v7, s5, v7
	s_delay_alu instid0(VALU_DEP_3) | instskip(SKIP_1) | instid1(SALU_CYCLE_1)
	v_mul_lo_u16 v2, 0xcd, v1
	s_mul_i32 s4, s14, s4
	v_add_co_u32 v12, vcc_lo, v12, s4
	s_delay_alu instid0(VALU_DEP_2) | instskip(SKIP_2) | instid1(VALU_DEP_2)
	v_lshrrev_b16 v19, 13, v2
	v_add_co_ci_u32_e32 v13, vcc_lo, v6, v7, vcc_lo
	s_mov_b32 s4, exec_lo
	v_mul_lo_u16 v2, v19, 40
	s_delay_alu instid0(VALU_DEP_1) | instskip(NEXT) | instid1(VALU_DEP_1)
	v_sub_nc_u16 v1, v1, v2
	v_and_b32_e32 v11, 0xff, v1
	s_delay_alu instid0(VALU_DEP_1) | instskip(NEXT) | instid1(VALU_DEP_1)
	v_or_b32_e32 v1, 0x80, v11
	v_mul_lo_u16 v2, 0xcd, v1
	s_delay_alu instid0(VALU_DEP_1) | instskip(NEXT) | instid1(VALU_DEP_1)
	v_lshrrev_b16 v23, 13, v2
	v_mul_lo_u16 v2, v23, 40
	s_delay_alu instid0(VALU_DEP_1) | instskip(NEXT) | instid1(VALU_DEP_1)
	v_sub_nc_u16 v1, v1, v2
	v_and_b32_e32 v16, 0xff, v1
	s_delay_alu instid0(VALU_DEP_1) | instskip(NEXT) | instid1(VALU_DEP_1)
	v_or_b32_e32 v1, 0x80, v16
	v_mul_lo_u16 v2, 0xcd, v1
	s_delay_alu instid0(VALU_DEP_1) | instskip(NEXT) | instid1(VALU_DEP_1)
	v_lshrrev_b16 v25, 13, v2
	;; [unrolled: 9-line block ×5, first 2 shown]
	v_mul_lo_u16 v4, v30, 40
	s_delay_alu instid0(VALU_DEP_1) | instskip(NEXT) | instid1(VALU_DEP_1)
	v_sub_nc_u16 v2, v2, v4
	v_and_b32_e32 v2, 0xff, v2
	s_delay_alu instid0(VALU_DEP_1) | instskip(NEXT) | instid1(VALU_DEP_1)
	v_or_b32_e32 v3, 0x80, v2
	v_mul_lo_u16 v4, 0xcd, v3
	s_delay_alu instid0(VALU_DEP_1) | instskip(SKIP_2) | instid1(VALU_DEP_3)
	v_lshrrev_b16 v31, 13, v4
	v_mad_u64_u32 v[4:5], null, s6, v15, v[14:15]
	v_mad_u32_u24 v14, v15, 40, v14
	v_mul_lo_u16 v8, v31, 40
	v_and_b32_e32 v31, 0xffff, v31
	s_delay_alu instid0(VALU_DEP_3) | instskip(SKIP_1) | instid1(VALU_DEP_4)
	v_lshl_add_u32 v42, v14, 2, 0
	v_ashrrev_i32_e32 v5, 31, v4
	v_sub_nc_u16 v3, v3, v8
	s_delay_alu instid0(VALU_DEP_2) | instskip(NEXT) | instid1(VALU_DEP_2)
	v_lshlrev_b64 v[4:5], 2, v[4:5]
	v_and_b32_e32 v3, 0xff, v3
	s_delay_alu instid0(VALU_DEP_2) | instskip(NEXT) | instid1(VALU_DEP_3)
	v_add_co_u32 v4, vcc_lo, v12, v4
	v_add_co_ci_u32_e32 v5, vcc_lo, v13, v5, vcc_lo
	s_delay_alu instid0(VALU_DEP_3) | instskip(SKIP_2) | instid1(VALU_DEP_1)
	v_or_b32_e32 v8, 0x80, v3
	global_load_b32 v35, v[4:5], off
	v_mul_lo_u16 v20, 0xcd, v8
	v_lshrrev_b16 v32, 13, v20
	s_delay_alu instid0(VALU_DEP_1) | instskip(NEXT) | instid1(VALU_DEP_1)
	v_mul_lo_u16 v6, v32, 40
	v_sub_nc_u16 v4, v8, v6
	s_delay_alu instid0(VALU_DEP_1) | instskip(NEXT) | instid1(VALU_DEP_1)
	v_and_b32_e32 v4, 0xff, v4
	v_or_b32_e32 v5, 0x80, v4
	s_delay_alu instid0(VALU_DEP_1) | instskip(NEXT) | instid1(VALU_DEP_1)
	v_mul_lo_u16 v6, 0xcd, v5
	v_lshrrev_b16 v36, 13, v6
	s_delay_alu instid0(VALU_DEP_1) | instskip(NEXT) | instid1(VALU_DEP_1)
	v_mul_lo_u16 v6, v36, 40
	v_sub_nc_u16 v5, v5, v6
	s_delay_alu instid0(VALU_DEP_1) | instskip(NEXT) | instid1(VALU_DEP_1)
	v_and_b32_e32 v5, 0xff, v5
	v_or_b32_e32 v6, 0x80, v5
	s_delay_alu instid0(VALU_DEP_1) | instskip(NEXT) | instid1(VALU_DEP_1)
	;; [unrolled: 9-line block ×5, first 2 shown]
	v_mul_lo_u16 v21, 0xcd, v20
	v_lshrrev_b16 v40, 13, v21
	s_delay_alu instid0(VALU_DEP_1) | instskip(NEXT) | instid1(VALU_DEP_1)
	v_mul_lo_u16 v21, v40, 40
	v_sub_nc_u16 v20, v20, v21
	v_and_b32_e32 v21, 0xffff, v9
	s_delay_alu instid0(VALU_DEP_2) | instskip(NEXT) | instid1(VALU_DEP_2)
	v_and_b32_e32 v9, 0xff, v20
	v_add_nc_u32_e32 v24, v15, v21
	v_and_b32_e32 v21, 0xffff, v19
	s_delay_alu instid0(VALU_DEP_3) | instskip(NEXT) | instid1(VALU_DEP_3)
	v_or_b32_e32 v26, 0x80, v9
	v_mad_u64_u32 v[19:20], null, v24, s6, v[10:11]
	s_delay_alu instid0(VALU_DEP_3) | instskip(SKIP_1) | instid1(VALU_DEP_4)
	v_add_nc_u32_e32 v28, v24, v21
	v_mad_u32_u24 v14, v24, 40, v10
	v_mul_lo_u16 v15, 0xcd, v26
	s_delay_alu instid0(VALU_DEP_3) | instskip(NEXT) | instid1(VALU_DEP_2)
	v_mad_u64_u32 v[21:22], null, v28, s6, v[11:12]
	v_lshrrev_b16 v41, 13, v15
	v_and_b32_e32 v22, 0xffff, v23
	v_ashrrev_i32_e32 v20, 31, v19
	v_mad_u32_u24 v15, v28, 40, v11
	s_delay_alu instid0(VALU_DEP_4) | instskip(NEXT) | instid1(VALU_DEP_4)
	v_mul_lo_u16 v10, v41, 40
	v_add_nc_u32_e32 v33, v28, v22
	s_delay_alu instid0(VALU_DEP_4) | instskip(SKIP_1) | instid1(VALU_DEP_4)
	v_lshlrev_b64 v[19:20], 2, v[19:20]
	v_ashrrev_i32_e32 v22, 31, v21
	v_sub_nc_u16 v10, v26, v10
	s_delay_alu instid0(VALU_DEP_4) | instskip(SKIP_2) | instid1(VALU_DEP_4)
	v_mad_u64_u32 v[23:24], null, v33, s6, v[16:17]
	v_and_b32_e32 v24, 0xffff, v25
	v_mad_u32_u24 v61, v33, 40, v16
	v_and_b32_e32 v10, 0xff, v10
	v_add_co_u32 v19, vcc_lo, v12, v19
	s_delay_alu instid0(VALU_DEP_4) | instskip(SKIP_1) | instid1(VALU_DEP_4)
	v_add_nc_u32_e32 v11, v33, v24
	v_ashrrev_i32_e32 v24, 31, v23
	v_or_b32_e32 v34, 0x80, v10
	v_lshlrev_b64 v[21:22], 2, v[21:22]
	v_add_co_ci_u32_e32 v20, vcc_lo, v13, v20, vcc_lo
	v_mad_u64_u32 v[25:26], null, v11, s6, v[17:18]
	s_delay_alu instid0(VALU_DEP_4)
	v_mul_lo_u16 v16, 0xcd, v34
	v_and_b32_e32 v26, 0xffff, v27
	v_mad_u32_u24 v62, v11, 40, v17
	v_lshlrev_b64 v[23:24], 2, v[23:24]
	v_add_co_u32 v21, vcc_lo, v12, v21
	v_lshrrev_b16 v43, 13, v16
	v_add_nc_u32_e32 v33, v11, v26
	v_ashrrev_i32_e32 v26, 31, v25
	v_add_co_ci_u32_e32 v22, vcc_lo, v13, v22, vcc_lo
	s_delay_alu instid0(VALU_DEP_4) | instskip(NEXT) | instid1(VALU_DEP_4)
	v_mul_lo_u16 v11, v43, 40
	v_mad_u64_u32 v[27:28], null, v33, s6, v[18:19]
	v_and_b32_e32 v28, 0xffff, v29
	v_lshlrev_b64 v[16:17], 2, v[25:26]
	s_delay_alu instid0(VALU_DEP_4)
	v_sub_nc_u16 v11, v34, v11
	v_mad_u32_u24 v65, v33, 40, v18
	v_and_b32_e32 v34, 0xffff, v32
	v_add_nc_u32_e32 v63, v33, v28
	v_ashrrev_i32_e32 v28, 31, v27
	v_and_b32_e32 v11, 0xff, v11
	v_add_co_u32 v23, vcc_lo, v12, v23
	s_delay_alu instid0(VALU_DEP_4) | instskip(SKIP_1) | instid1(VALU_DEP_4)
	v_mad_u64_u32 v[25:26], null, v63, s6, v[1:2]
	v_and_b32_e32 v26, 0xffff, v30
	v_or_b32_e32 v18, 0x80, v11
	v_lshlrev_b64 v[27:28], 2, v[27:28]
	v_add_co_ci_u32_e32 v24, vcc_lo, v13, v24, vcc_lo
	s_delay_alu instid0(VALU_DEP_4) | instskip(NEXT) | instid1(VALU_DEP_4)
	v_add_nc_u32_e32 v64, v63, v26
	v_mul_lo_u16 v33, 0xcd, v18
	v_ashrrev_i32_e32 v26, 31, v25
	v_add_co_u32 v16, vcc_lo, v12, v16
	s_delay_alu instid0(VALU_DEP_4) | instskip(SKIP_4) | instid1(VALU_DEP_4)
	v_mad_u64_u32 v[29:30], null, v64, s6, v[2:3]
	v_add_nc_u32_e32 v66, v64, v31
	v_lshrrev_b16 v44, 13, v33
	v_lshlrev_b64 v[25:26], 2, v[25:26]
	v_add_co_ci_u32_e32 v17, vcc_lo, v13, v17, vcc_lo
	v_mad_u64_u32 v[31:32], null, v66, s6, v[3:4]
	s_delay_alu instid0(VALU_DEP_4) | instskip(SKIP_3) | instid1(VALU_DEP_4)
	v_mul_lo_u16 v32, v44, 40
	v_ashrrev_i32_e32 v30, 31, v29
	v_add_nc_u32_e32 v67, v66, v34
	v_add_co_u32 v27, vcc_lo, v12, v27
	v_sub_nc_u16 v18, v18, v32
	s_delay_alu instid0(VALU_DEP_4) | instskip(NEXT) | instid1(VALU_DEP_4)
	v_lshlrev_b64 v[29:30], 2, v[29:30]
	v_mad_u64_u32 v[33:34], null, v67, s6, v[4:5]
	v_and_b32_e32 v34, 0xffff, v36
	v_add_co_ci_u32_e32 v28, vcc_lo, v13, v28, vcc_lo
	v_add_co_u32 v25, vcc_lo, v12, v25
	v_and_b32_e32 v18, 0xff, v18
	v_add_co_ci_u32_e32 v26, vcc_lo, v13, v26, vcc_lo
	v_add_co_u32 v29, vcc_lo, v12, v29
	v_add_nc_u32_e32 v75, v67, v34
	v_add_co_ci_u32_e32 v30, vcc_lo, v13, v30, vcc_lo
	s_clause 0x6
	global_load_b32 v68, v[19:20], off
	global_load_b32 v69, v[21:22], off
	;; [unrolled: 1-line block ×7, first 2 shown]
	v_or_b32_e32 v25, 0x80, v18
	v_mad_u64_u32 v[19:20], null, v75, s6, v[5:6]
	v_and_b32_e32 v20, 0xffff, v37
	v_ashrrev_i32_e32 v32, 31, v31
	s_delay_alu instid0(VALU_DEP_4) | instskip(SKIP_1) | instid1(VALU_DEP_4)
	v_mul_lo_u16 v23, 0xcd, v25
	v_ashrrev_i32_e32 v34, 31, v33
	v_add_nc_u32_e32 v76, v75, v20
	s_delay_alu instid0(VALU_DEP_4) | instskip(NEXT) | instid1(VALU_DEP_4)
	v_lshlrev_b64 v[16:17], 2, v[31:32]
	v_lshrrev_b16 v37, 13, v23
	s_delay_alu instid0(VALU_DEP_4)
	v_lshlrev_b64 v[21:22], 2, v[33:34]
	v_ashrrev_i32_e32 v20, 31, v19
	v_mad_u64_u32 v[23:24], null, v76, s6, v[6:7]
	v_and_b32_e32 v24, 0xffff, v38
	v_mul_lo_u16 v26, v37, 40
	v_add_co_u32 v16, vcc_lo, v12, v16
	v_lshlrev_b64 v[19:20], 2, v[19:20]
	s_delay_alu instid0(VALU_DEP_4) | instskip(NEXT) | instid1(VALU_DEP_4)
	v_add_nc_u32_e32 v77, v76, v24
	v_sub_nc_u16 v27, v25, v26
	v_ashrrev_i32_e32 v24, 31, v23
	v_add_co_ci_u32_e32 v17, vcc_lo, v13, v17, vcc_lo
	s_delay_alu instid0(VALU_DEP_4) | instskip(NEXT) | instid1(VALU_DEP_4)
	v_mad_u64_u32 v[25:26], null, v77, s6, v[7:8]
	v_and_b32_e32 v27, 0xff, v27
	v_and_b32_e32 v26, 0xffff, v39
	v_add_co_u32 v21, vcc_lo, v12, v21
	v_lshlrev_b64 v[23:24], 2, v[23:24]
	s_delay_alu instid0(VALU_DEP_4) | instskip(NEXT) | instid1(VALU_DEP_4)
	v_or_b32_e32 v32, 0x80, v27
	v_add_nc_u32_e32 v78, v77, v26
	v_ashrrev_i32_e32 v26, 31, v25
	v_add_co_ci_u32_e32 v22, vcc_lo, v13, v22, vcc_lo
	s_delay_alu instid0(VALU_DEP_4) | instskip(NEXT) | instid1(VALU_DEP_4)
	v_mul_lo_u16 v30, 0xcd, v32
	v_mad_u64_u32 v[28:29], null, v78, s6, v[8:9]
	v_and_b32_e32 v29, 0xffff, v40
	s_waitcnt vmcnt(7)
	ds_store_b32 v42, v35
	v_lshrrev_b16 v42, 13, v30
	v_and_b32_e32 v38, 0xffff, v44
	v_add_co_u32 v19, vcc_lo, v12, v19
	v_add_nc_u32_e32 v79, v78, v29
	s_delay_alu instid0(VALU_DEP_4)
	v_mul_lo_u16 v33, v42, 40
	v_ashrrev_i32_e32 v29, 31, v28
	v_lshlrev_b64 v[25:26], 2, v[25:26]
	v_add_co_ci_u32_e32 v20, vcc_lo, v13, v20, vcc_lo
	v_mad_u64_u32 v[30:31], null, v79, s6, v[9:10]
	v_and_b32_e32 v31, 0xffff, v41
	v_sub_nc_u16 v34, v32, v33
	v_add_co_u32 v23, vcc_lo, v12, v23
	v_lshlrev_b64 v[28:29], 2, v[28:29]
	s_delay_alu instid0(VALU_DEP_4) | instskip(NEXT) | instid1(VALU_DEP_4)
	v_add_nc_u32_e32 v80, v79, v31
	v_and_b32_e32 v34, 0xff, v34
	v_and_b32_e32 v37, 0xffff, v37
	v_add_co_ci_u32_e32 v24, vcc_lo, v13, v24, vcc_lo
	s_delay_alu instid0(VALU_DEP_4) | instskip(SKIP_4) | instid1(VALU_DEP_4)
	v_mad_u64_u32 v[32:33], null, v80, s6, v[10:11]
	v_and_b32_e32 v33, 0xffff, v43
	v_or_b32_e32 v41, 0x80, v34
	v_add_co_u32 v25, vcc_lo, v12, v25
	v_add_co_ci_u32_e32 v26, vcc_lo, v13, v26, vcc_lo
	v_add_nc_u32_e32 v81, v80, v33
	s_delay_alu instid0(VALU_DEP_4) | instskip(SKIP_2) | instid1(VALU_DEP_4)
	v_mul_lo_u16 v39, 0xcd, v41
	v_add_co_u32 v28, vcc_lo, v12, v28
	v_ashrrev_i32_e32 v31, 31, v30
	v_add_nc_u32_e32 v82, v81, v38
	s_delay_alu instid0(VALU_DEP_4) | instskip(SKIP_2) | instid1(VALU_DEP_4)
	v_lshrrev_b16 v44, 13, v39
	v_mad_u64_u32 v[35:36], null, v81, s6, v[11:12]
	v_ashrrev_i32_e32 v33, 31, v32
	v_add_nc_u32_e32 v83, v82, v37
	s_delay_alu instid0(VALU_DEP_4) | instskip(SKIP_2) | instid1(VALU_DEP_4)
	v_mul_lo_u16 v43, v44, 40
	v_mad_u64_u32 v[37:38], null, v82, s6, v[18:19]
	v_and_b32_e32 v38, 0xffff, v42
	v_mad_u64_u32 v[39:40], null, v83, s6, v[27:28]
	s_delay_alu instid0(VALU_DEP_4) | instskip(SKIP_1) | instid1(VALU_DEP_4)
	v_sub_nc_u16 v40, v41, v43
	v_ashrrev_i32_e32 v36, 31, v35
	v_add_nc_u32_e32 v84, v83, v38
	v_lshlrev_b64 v[30:31], 2, v[30:31]
	v_lshlrev_b64 v[32:33], 2, v[32:33]
	v_and_b32_e32 v41, 0xff, v40
	v_lshlrev_b64 v[35:36], 2, v[35:36]
	v_ashrrev_i32_e32 v38, 31, v37
	v_add_co_ci_u32_e32 v29, vcc_lo, v13, v29, vcc_lo
	s_delay_alu instid0(VALU_DEP_4) | instskip(SKIP_2) | instid1(VALU_DEP_3)
	v_or_b32_e32 v46, 0x80, v41
	v_add_co_u32 v30, vcc_lo, v12, v30
	v_mad_u64_u32 v[42:43], null, v84, s6, v[34:35]
	v_mul_lo_u16 v47, 0xcd, v46
	v_and_b32_e32 v43, 0xffff, v44
	v_ashrrev_i32_e32 v40, 31, v39
	v_add_co_ci_u32_e32 v31, vcc_lo, v13, v31, vcc_lo
	s_delay_alu instid0(VALU_DEP_4) | instskip(NEXT) | instid1(VALU_DEP_4)
	v_lshrrev_b16 v47, 13, v47
	v_add_nc_u32_e32 v85, v84, v43
	v_add_co_u32 v32, vcc_lo, v12, v32
	v_lshlrev_b64 v[37:38], 2, v[37:38]
	s_delay_alu instid0(VALU_DEP_4) | instskip(SKIP_3) | instid1(VALU_DEP_4)
	v_mul_lo_u16 v48, v47, 40
	v_and_b32_e32 v47, 0xffff, v47
	v_mad_u64_u32 v[44:45], null, v85, s6, v[41:42]
	v_ashrrev_i32_e32 v43, 31, v42
	v_sub_nc_u16 v46, v46, v48
	s_delay_alu instid0(VALU_DEP_4) | instskip(SKIP_2) | instid1(VALU_DEP_4)
	v_add_nc_u32_e32 v86, v85, v47
	v_add_co_ci_u32_e32 v33, vcc_lo, v13, v33, vcc_lo
	v_add_co_u32 v35, vcc_lo, v12, v35
	v_and_b32_e32 v46, 0xff, v46
	v_lshlrev_b64 v[39:40], 2, v[39:40]
	v_ashrrev_i32_e32 v45, 31, v44
	v_add_co_ci_u32_e32 v36, vcc_lo, v13, v36, vcc_lo
	s_delay_alu instid0(VALU_DEP_4) | instskip(SKIP_2) | instid1(VALU_DEP_3)
	v_or_b32_e32 v49, 0x80, v46
	v_mad_u64_u32 v[47:48], null, v86, s6, v[46:47]
	v_add_co_u32 v37, vcc_lo, v12, v37
	v_mul_lo_u16 v50, 0xcd, v49
	v_lshlrev_b64 v[42:43], 2, v[42:43]
	v_add_co_ci_u32_e32 v38, vcc_lo, v13, v38, vcc_lo
	v_ashrrev_i32_e32 v48, 31, v47
	s_delay_alu instid0(VALU_DEP_4) | instskip(SKIP_3) | instid1(VALU_DEP_4)
	v_lshrrev_b16 v50, 13, v50
	v_add_co_u32 v39, vcc_lo, v12, v39
	v_lshlrev_b64 v[44:45], 2, v[44:45]
	v_add_co_ci_u32_e32 v40, vcc_lo, v13, v40, vcc_lo
	v_mul_lo_u16 v51, v50, 40
	v_and_b32_e32 v50, 0xffff, v50
	v_add_co_u32 v42, vcc_lo, v12, v42
	v_lshlrev_b64 v[47:48], 2, v[47:48]
	s_delay_alu instid0(VALU_DEP_4) | instskip(NEXT) | instid1(VALU_DEP_4)
	v_sub_nc_u16 v49, v49, v51
	v_add_nc_u32_e32 v87, v86, v50
	v_add_co_ci_u32_e32 v43, vcc_lo, v13, v43, vcc_lo
	v_add_co_u32 v44, vcc_lo, v12, v44
	s_delay_alu instid0(VALU_DEP_4) | instskip(SKIP_2) | instid1(VALU_DEP_3)
	v_and_b32_e32 v49, 0xff, v49
	v_add_co_ci_u32_e32 v45, vcc_lo, v13, v45, vcc_lo
	v_add_co_u32 v47, vcc_lo, v12, v47
	v_or_b32_e32 v52, 0x80, v49
	v_mad_u64_u32 v[50:51], null, v87, s6, v[49:50]
	v_add_co_ci_u32_e32 v48, vcc_lo, v13, v48, vcc_lo
	s_delay_alu instid0(VALU_DEP_3) | instskip(NEXT) | instid1(VALU_DEP_3)
	v_mul_lo_u16 v53, 0xcd, v52
	v_ashrrev_i32_e32 v51, 31, v50
	s_delay_alu instid0(VALU_DEP_2) | instskip(NEXT) | instid1(VALU_DEP_2)
	v_lshrrev_b16 v53, 13, v53
	v_lshlrev_b64 v[50:51], 2, v[50:51]
	s_delay_alu instid0(VALU_DEP_2) | instskip(SKIP_1) | instid1(VALU_DEP_2)
	v_mul_lo_u16 v54, v53, 40
	v_and_b32_e32 v53, 0xffff, v53
	v_sub_nc_u16 v52, v52, v54
	s_delay_alu instid0(VALU_DEP_2) | instskip(SKIP_2) | instid1(VALU_DEP_4)
	v_add_nc_u32_e32 v88, v87, v53
	v_add_co_u32 v50, vcc_lo, v12, v50
	v_add_co_ci_u32_e32 v51, vcc_lo, v13, v51, vcc_lo
	v_and_b32_e32 v52, 0xff, v52
	s_delay_alu instid0(VALU_DEP_1) | instskip(SKIP_1) | instid1(VALU_DEP_2)
	v_or_b32_e32 v55, 0x80, v52
	v_mad_u64_u32 v[53:54], null, v88, s6, v[52:53]
	v_mul_lo_u16 v56, 0xcd, v55
	s_delay_alu instid0(VALU_DEP_2) | instskip(NEXT) | instid1(VALU_DEP_2)
	v_ashrrev_i32_e32 v54, 31, v53
	v_lshrrev_b16 v56, 13, v56
	s_delay_alu instid0(VALU_DEP_2) | instskip(NEXT) | instid1(VALU_DEP_2)
	v_lshlrev_b64 v[53:54], 2, v[53:54]
	v_mul_lo_u16 v57, v56, 40
	v_and_b32_e32 v56, 0xffff, v56
	s_delay_alu instid0(VALU_DEP_2) | instskip(NEXT) | instid1(VALU_DEP_2)
	v_sub_nc_u16 v55, v55, v57
	v_add_nc_u32_e32 v89, v88, v56
	v_add_co_u32 v53, vcc_lo, v12, v53
	v_add_co_ci_u32_e32 v54, vcc_lo, v13, v54, vcc_lo
	s_delay_alu instid0(VALU_DEP_4) | instskip(NEXT) | instid1(VALU_DEP_1)
	v_and_b32_e32 v55, 0xff, v55
	v_or_b32_e32 v58, 0x80, v55
	v_mad_u64_u32 v[56:57], null, v89, s6, v[55:56]
	s_delay_alu instid0(VALU_DEP_2) | instskip(NEXT) | instid1(VALU_DEP_2)
	v_mul_lo_u16 v59, 0xcd, v58
	v_ashrrev_i32_e32 v57, 31, v56
	s_delay_alu instid0(VALU_DEP_2) | instskip(NEXT) | instid1(VALU_DEP_2)
	v_lshrrev_b16 v59, 13, v59
	v_lshlrev_b64 v[56:57], 2, v[56:57]
	s_delay_alu instid0(VALU_DEP_2) | instskip(SKIP_1) | instid1(VALU_DEP_2)
	v_mul_lo_u16 v60, v59, 40
	v_and_b32_e32 v59, 0xffff, v59
	v_sub_nc_u16 v58, v58, v60
	s_delay_alu instid0(VALU_DEP_2) | instskip(SKIP_2) | instid1(VALU_DEP_4)
	v_add_nc_u32_e32 v90, v89, v59
	v_add_co_u32 v56, vcc_lo, v12, v56
	v_add_co_ci_u32_e32 v57, vcc_lo, v13, v57, vcc_lo
	v_and_b32_e32 v58, 0xff, v58
	s_delay_alu instid0(VALU_DEP_1) | instskip(NEXT) | instid1(VALU_DEP_1)
	v_mad_u64_u32 v[59:60], null, v90, s6, v[58:59]
	v_ashrrev_i32_e32 v60, 31, v59
	s_delay_alu instid0(VALU_DEP_1) | instskip(NEXT) | instid1(VALU_DEP_1)
	v_lshlrev_b64 v[59:60], 2, v[59:60]
	v_add_co_u32 v59, vcc_lo, v12, v59
	s_delay_alu instid0(VALU_DEP_2)
	v_add_co_ci_u32_e32 v60, vcc_lo, v13, v60, vcc_lo
	s_clause 0x11
	global_load_b32 v91, v[16:17], off
	global_load_b32 v21, v[21:22], off
	;; [unrolled: 1-line block ×18, first 2 shown]
	v_mad_u64_u32 v[16:17], null, v63, 40, v[1:2]
	v_lshl_add_u32 v1, v14, 2, 0
	v_lshl_add_u32 v17, v15, 2, 0
	;; [unrolled: 1-line block ×4, first 2 shown]
	v_mad_u64_u32 v[14:15], null, v64, 40, v[2:3]
	v_lshl_add_u32 v15, v65, 2, 0
	v_lshl_add_u32 v16, v16, 2, 0
	s_waitcnt vmcnt(24)
	ds_store_b32 v1, v68
	s_waitcnt vmcnt(23)
	ds_store_b32 v17, v69
	;; [unrolled: 2-line block ×4, first 2 shown]
	v_mad_u64_u32 v[1:2], null, v66, 40, v[3:4]
	v_mad_u64_u32 v[2:3], null, v67, 40, v[4:5]
	;; [unrolled: 1-line block ×4, first 2 shown]
	v_lshl_add_u32 v14, v14, 2, 0
	v_mad_u64_u32 v[5:6], null, v77, 40, v[7:8]
	v_lshl_add_u32 v6, v1, 2, 0
	v_lshl_add_u32 v7, v2, 2, 0
	v_mad_u64_u32 v[1:2], null, v78, 40, v[8:9]
	s_waitcnt vmcnt(20)
	ds_store_b32 v15, v72
	s_waitcnt vmcnt(19)
	ds_store_b32 v16, v73
	;; [unrolled: 2-line block ×3, first 2 shown]
	v_lshl_add_u32 v14, v3, 2, 0
	v_mad_u64_u32 v[2:3], null, v79, 40, v[9:10]
	v_lshl_add_u32 v15, v4, 2, 0
	v_mad_u64_u32 v[3:4], null, v80, 40, v[10:11]
	v_lshl_add_u32 v5, v5, 2, 0
	v_or_b32_e32 v8, 0x80, v58
	s_waitcnt vmcnt(17)
	ds_store_b32 v6, v91
	s_waitcnt vmcnt(16)
	ds_store_b32 v7, v21
	;; [unrolled: 2-line block ×5, first 2 shown]
	v_lshl_add_u32 v5, v1, 2, 0
	v_lshl_add_u32 v6, v2, 2, 0
	v_mad_u64_u32 v[1:2], null, v81, 40, v[11:12]
	v_lshl_add_u32 v7, v3, 2, 0
	v_mad_u64_u32 v[2:3], null, v82, 40, v[18:19]
	s_waitcnt vmcnt(8)
	v_mad_u64_u32 v[3:4], null, v83, 40, v[27:28]
	ds_store_b32 v5, v23
	ds_store_b32 v6, v24
	;; [unrolled: 1-line block ×3, first 2 shown]
	s_waitcnt vmcnt(2)
	v_mad_u64_u32 v[4:5], null, v84, 40, v[34:35]
	v_lshl_add_u32 v5, v1, 2, 0
	v_lshl_add_u32 v6, v2, 2, 0
	v_mad_u64_u32 v[1:2], null, v85, 40, v[41:42]
	v_lshl_add_u32 v7, v3, 2, 0
	v_mad_u64_u32 v[2:3], null, v86, 40, v[46:47]
	v_lshl_add_u32 v3, v4, 2, 0
	ds_store_b32 v5, v26
	ds_store_b32 v6, v28
	v_mul_lo_u16 v5, 0xcd, v8
	ds_store_b32 v7, v29
	ds_store_b32 v3, v30
	v_lshl_add_u32 v7, v1, 2, 0
	v_lshl_add_u32 v9, v2, 2, 0
	v_mad_u64_u32 v[1:2], null, v87, 40, v[49:50]
	v_lshrrev_b16 v2, 13, v5
	v_mad_u64_u32 v[3:4], null, v88, 40, v[52:53]
	v_mad_u64_u32 v[4:5], null, v89, 40, v[55:56]
	;; [unrolled: 1-line block ×3, first 2 shown]
	s_delay_alu instid0(VALU_DEP_4)
	v_mul_lo_u16 v6, v2, 40
	v_and_b32_e32 v2, 0xffff, v2
	ds_store_b32 v7, v31
	ds_store_b32 v9, v32
	v_lshl_add_u32 v7, v1, 2, 0
	v_lshl_add_u32 v3, v3, 2, 0
	v_sub_nc_u16 v1, v8, v6
	v_add_nc_u32_e32 v2, v90, v2
	v_lshl_add_u32 v4, v4, 2, 0
	v_lshl_add_u32 v5, v5, 2, 0
	ds_store_b32 v7, v33
	ds_store_b32 v3, v35
	s_waitcnt vmcnt(1)
	ds_store_b32 v4, v36
	s_waitcnt vmcnt(0)
	ds_store_b32 v5, v37
	v_and_b32_e32 v1, 0xff, v1
	v_cmpx_gt_u32_e32 0x80, v2
	s_cbranch_execz .LBB17_2
; %bb.1:
	s_delay_alu instid0(VALU_DEP_2) | instskip(NEXT) | instid1(VALU_DEP_1)
	v_mad_u64_u32 v[3:4], null, v2, s6, v[1:2]
	v_ashrrev_i32_e32 v4, 31, v3
	s_delay_alu instid0(VALU_DEP_1) | instskip(NEXT) | instid1(VALU_DEP_1)
	v_lshlrev_b64 v[3:4], 2, v[3:4]
	v_add_co_u32 v3, vcc_lo, v12, v3
	s_delay_alu instid0(VALU_DEP_2) | instskip(SKIP_2) | instid1(VALU_DEP_1)
	v_add_co_ci_u32_e32 v4, vcc_lo, v13, v4, vcc_lo
	global_load_b32 v5, v[3:4], off
	v_mad_u64_u32 v[3:4], null, v2, 40, v[1:2]
	v_lshl_add_u32 v3, v3, 2, 0
	s_waitcnt vmcnt(0)
	ds_store_b32 v3, v5
.LBB17_2:
	s_or_b32 exec_lo, exec_lo, s4
	s_delay_alu instid0(VALU_DEP_2) | instskip(SKIP_1) | instid1(VALU_DEP_1)
	v_or_b32_e32 v1, 0x80, v1
	s_mov_b32 s4, exec_lo
	v_mul_lo_u16 v3, 0xcd, v1
	s_delay_alu instid0(VALU_DEP_1) | instskip(NEXT) | instid1(VALU_DEP_1)
	v_lshrrev_b16 v3, 13, v3
	v_mul_lo_u16 v4, v3, 40
	v_and_b32_e32 v3, 0xffff, v3
	s_delay_alu instid0(VALU_DEP_2) | instskip(NEXT) | instid1(VALU_DEP_2)
	v_sub_nc_u16 v1, v1, v4
	v_add_nc_u32_e32 v2, v2, v3
	s_delay_alu instid0(VALU_DEP_2) | instskip(NEXT) | instid1(VALU_DEP_2)
	v_and_b32_e32 v1, 0xff, v1
	v_cmpx_gt_u32_e32 0x80, v2
	s_cbranch_execz .LBB17_4
; %bb.3:
	s_delay_alu instid0(VALU_DEP_2) | instskip(NEXT) | instid1(VALU_DEP_1)
	v_mad_u64_u32 v[3:4], null, v2, s6, v[1:2]
	v_ashrrev_i32_e32 v4, 31, v3
	s_delay_alu instid0(VALU_DEP_1) | instskip(NEXT) | instid1(VALU_DEP_1)
	v_lshlrev_b64 v[3:4], 2, v[3:4]
	v_add_co_u32 v3, vcc_lo, v12, v3
	s_delay_alu instid0(VALU_DEP_2) | instskip(SKIP_2) | instid1(VALU_DEP_1)
	v_add_co_ci_u32_e32 v4, vcc_lo, v13, v4, vcc_lo
	global_load_b32 v5, v[3:4], off
	v_mad_u64_u32 v[3:4], null, v2, 40, v[1:2]
	v_lshl_add_u32 v3, v3, 2, 0
	s_waitcnt vmcnt(0)
	ds_store_b32 v3, v5
.LBB17_4:
	s_or_b32 exec_lo, exec_lo, s4
	s_delay_alu instid0(VALU_DEP_2) | instskip(SKIP_1) | instid1(VALU_DEP_1)
	v_or_b32_e32 v1, 0x80, v1
	s_mov_b32 s4, exec_lo
	v_mul_lo_u16 v3, 0xcd, v1
	s_delay_alu instid0(VALU_DEP_1) | instskip(NEXT) | instid1(VALU_DEP_1)
	v_lshrrev_b16 v3, 13, v3
	v_mul_lo_u16 v4, v3, 40
	v_and_b32_e32 v3, 0xffff, v3
	s_delay_alu instid0(VALU_DEP_2) | instskip(NEXT) | instid1(VALU_DEP_2)
	v_sub_nc_u16 v1, v1, v4
	v_add_nc_u32_e32 v2, v2, v3
	s_delay_alu instid0(VALU_DEP_2) | instskip(NEXT) | instid1(VALU_DEP_2)
	;; [unrolled: 31-line block ×6, first 2 shown]
	v_and_b32_e32 v1, 0xff, v1
	v_cmpx_gt_u32_e32 0x80, v2
	s_cbranch_execz .LBB17_14
; %bb.13:
	s_delay_alu instid0(VALU_DEP_2) | instskip(NEXT) | instid1(VALU_DEP_1)
	v_mad_u64_u32 v[3:4], null, v2, s6, v[1:2]
	v_ashrrev_i32_e32 v4, 31, v3
	s_delay_alu instid0(VALU_DEP_1) | instskip(NEXT) | instid1(VALU_DEP_1)
	v_lshlrev_b64 v[3:4], 2, v[3:4]
	v_add_co_u32 v3, vcc_lo, v12, v3
	s_delay_alu instid0(VALU_DEP_2) | instskip(SKIP_2) | instid1(VALU_DEP_1)
	v_add_co_ci_u32_e32 v4, vcc_lo, v13, v4, vcc_lo
	global_load_b32 v5, v[3:4], off
	v_mad_u64_u32 v[3:4], null, v2, 40, v[1:2]
	v_lshl_add_u32 v3, v3, 2, 0
	s_waitcnt vmcnt(0)
	ds_store_b32 v3, v5
.LBB17_14:
	s_or_b32 exec_lo, exec_lo, s4
	s_clause 0x1
	s_load_b128 s[8:11], s[0:1], 0x8
	s_load_b64 s[4:5], s[0:1], 0x28
	s_mov_b32 s12, exec_lo
	v_cmpx_gt_u32_e32 0x380, v0
	s_cbranch_execz .LBB17_35
; %bb.15:
	v_or_b32_e32 v1, 0x80, v1
	s_mov_b32 s16, exec_lo
	s_delay_alu instid0(VALU_DEP_1) | instskip(NEXT) | instid1(VALU_DEP_1)
	v_mul_lo_u16 v3, 0xcd, v1
	v_lshrrev_b16 v3, 13, v3
	s_delay_alu instid0(VALU_DEP_1) | instskip(SKIP_1) | instid1(VALU_DEP_2)
	v_mul_lo_u16 v4, v3, 40
	v_and_b32_e32 v3, 0xffff, v3
	v_sub_nc_u16 v1, v1, v4
	s_delay_alu instid0(VALU_DEP_2) | instskip(NEXT) | instid1(VALU_DEP_2)
	v_add_nc_u32_e32 v2, v2, v3
	v_and_b32_e32 v1, 0xff, v1
	s_delay_alu instid0(VALU_DEP_2)
	v_cmpx_gt_u32_e32 0x80, v2
	s_cbranch_execz .LBB17_17
; %bb.16:
	s_delay_alu instid0(VALU_DEP_2) | instskip(NEXT) | instid1(VALU_DEP_1)
	v_mad_u64_u32 v[3:4], null, v2, s6, v[1:2]
	v_ashrrev_i32_e32 v4, 31, v3
	s_delay_alu instid0(VALU_DEP_1) | instskip(NEXT) | instid1(VALU_DEP_1)
	v_lshlrev_b64 v[3:4], 2, v[3:4]
	v_add_co_u32 v3, vcc_lo, v12, v3
	s_delay_alu instid0(VALU_DEP_2) | instskip(SKIP_2) | instid1(VALU_DEP_1)
	v_add_co_ci_u32_e32 v4, vcc_lo, v13, v4, vcc_lo
	global_load_b32 v5, v[3:4], off
	v_mad_u64_u32 v[3:4], null, v2, 40, v[1:2]
	v_lshl_add_u32 v3, v3, 2, 0
	s_waitcnt vmcnt(0)
	ds_store_b32 v3, v5
.LBB17_17:
	s_or_b32 exec_lo, exec_lo, s16
	v_cmp_gt_u32_e32 vcc_lo, 0x300, v0
	s_and_b32 exec_lo, exec_lo, vcc_lo
	s_cbranch_execz .LBB17_35
; %bb.18:
	v_or_b32_e32 v1, 0x80, v1
	s_mov_b32 s16, exec_lo
	s_delay_alu instid0(VALU_DEP_1) | instskip(NEXT) | instid1(VALU_DEP_1)
	v_mul_lo_u16 v3, 0xcd, v1
	v_lshrrev_b16 v3, 13, v3
	s_delay_alu instid0(VALU_DEP_1) | instskip(SKIP_1) | instid1(VALU_DEP_2)
	v_mul_lo_u16 v4, v3, 40
	v_and_b32_e32 v3, 0xffff, v3
	v_sub_nc_u16 v1, v1, v4
	s_delay_alu instid0(VALU_DEP_2) | instskip(NEXT) | instid1(VALU_DEP_2)
	v_add_nc_u32_e32 v2, v2, v3
	v_and_b32_e32 v1, 0xff, v1
	s_delay_alu instid0(VALU_DEP_2)
	v_cmpx_gt_u32_e32 0x80, v2
	s_cbranch_execz .LBB17_20
; %bb.19:
	s_delay_alu instid0(VALU_DEP_2) | instskip(NEXT) | instid1(VALU_DEP_1)
	v_mad_u64_u32 v[3:4], null, v2, s6, v[1:2]
	v_ashrrev_i32_e32 v4, 31, v3
	s_delay_alu instid0(VALU_DEP_1) | instskip(NEXT) | instid1(VALU_DEP_1)
	v_lshlrev_b64 v[3:4], 2, v[3:4]
	v_add_co_u32 v3, vcc_lo, v12, v3
	s_delay_alu instid0(VALU_DEP_2) | instskip(SKIP_2) | instid1(VALU_DEP_1)
	v_add_co_ci_u32_e32 v4, vcc_lo, v13, v4, vcc_lo
	global_load_b32 v5, v[3:4], off
	v_mad_u64_u32 v[3:4], null, v2, 40, v[1:2]
	v_lshl_add_u32 v3, v3, 2, 0
	s_waitcnt vmcnt(0)
	ds_store_b32 v3, v5
.LBB17_20:
	s_or_b32 exec_lo, exec_lo, s16
	v_cmp_gt_u32_e32 vcc_lo, 0x280, v0
	s_and_b32 exec_lo, exec_lo, vcc_lo
	;; [unrolled: 35-line block ×6, first 2 shown]
	s_cbranch_execz .LBB17_35
; %bb.33:
	v_or_b32_e32 v3, 0x80, v1
	s_delay_alu instid0(VALU_DEP_1) | instskip(NEXT) | instid1(VALU_DEP_1)
	v_mul_lo_u16 v1, 0xcd, v3
	v_lshrrev_b16 v4, 13, v1
	s_delay_alu instid0(VALU_DEP_1) | instskip(NEXT) | instid1(VALU_DEP_1)
	v_and_b32_e32 v1, 0xffff, v4
	v_add_nc_u32_e32 v1, v2, v1
	s_delay_alu instid0(VALU_DEP_1)
	v_cmp_gt_u32_e32 vcc_lo, 0x80, v1
	s_and_b32 exec_lo, exec_lo, vcc_lo
	s_cbranch_execz .LBB17_35
; %bb.34:
	v_mul_lo_u16 v2, v4, 40
	s_delay_alu instid0(VALU_DEP_1) | instskip(NEXT) | instid1(VALU_DEP_1)
	v_sub_nc_u16 v2, v3, v2
	v_and_b32_e32 v2, 0xff, v2
	s_delay_alu instid0(VALU_DEP_1) | instskip(NEXT) | instid1(VALU_DEP_1)
	v_mad_u64_u32 v[3:4], null, v1, s6, v[2:3]
	v_ashrrev_i32_e32 v4, 31, v3
	s_delay_alu instid0(VALU_DEP_1) | instskip(NEXT) | instid1(VALU_DEP_1)
	v_lshlrev_b64 v[3:4], 2, v[3:4]
	v_add_co_u32 v3, vcc_lo, v12, v3
	s_delay_alu instid0(VALU_DEP_2) | instskip(SKIP_2) | instid1(VALU_DEP_1)
	v_add_co_ci_u32_e32 v4, vcc_lo, v13, v4, vcc_lo
	global_load_b32 v5, v[3:4], off
	v_mad_u64_u32 v[3:4], null, v1, 40, v[2:3]
	v_lshl_add_u32 v1, v3, 2, 0
	s_waitcnt vmcnt(0)
	ds_store_b32 v1, v5
.LBB17_35:
	s_or_b32 exec_lo, exec_lo, s12
	s_ashr_i32 s6, s7, 31
	s_mul_hi_u32 s12, s2, s7
	s_mul_i32 s6, s2, s6
	s_mul_i32 s16, s3, s7
	s_add_i32 s6, s12, s6
	s_mul_i32 s12, s2, s7
	s_add_i32 s6, s6, s16
	s_waitcnt lgkmcnt(0)
	s_add_u32 s8, s8, s12
	s_addc_u32 s6, s9, s6
	s_ashr_i32 s7, s7, 2
	s_delay_alu instid0(SALU_CYCLE_1)
	v_mul_lo_u32 v1, s7, v0
	s_barrier
	buffer_gl0_inv
	v_lshlrev_b32_e32 v13, 2, v0
	s_cmp_eq_u64 s[10:11], 0
	v_ashrrev_i32_e32 v2, 31, v1
	s_delay_alu instid0(VALU_DEP_1) | instskip(NEXT) | instid1(VALU_DEP_1)
	v_lshlrev_b64 v[1:2], 2, v[1:2]
	v_add_co_u32 v5, vcc_lo, s8, v1
	s_delay_alu instid0(VALU_DEP_2)
	v_add_co_ci_u32_e32 v6, vcc_lo, s6, v2, vcc_lo
	s_clause 0x2
	global_load_b32 v14, v[5:6], off offset:32
	global_load_b128 v[1:4], v[5:6], off offset:16
	global_load_b128 v[5:8], v[5:6], off
	s_cbranch_scc1 .LBB17_37
; %bb.36:
	s_lshl_b64 s[6:7], s[2:3], 2
	s_delay_alu instid0(SALU_CYCLE_1)
	s_add_u32 s6, s10, s6
	s_addc_u32 s7, s11, s7
	global_load_b32 v15, v13, s[6:7]
	s_branch .LBB17_38
.LBB17_37:
	v_mov_b32_e32 v15, 0
.LBB17_38:
	s_load_b64 s[6:7], s[0:1], 0x40
	s_waitcnt lgkmcnt(0)
	s_sub_u32 s6, s6, s14
	s_subb_u32 s7, s7, s15
	s_delay_alu instid0(SALU_CYCLE_1) | instskip(NEXT) | instid1(VALU_DEP_1)
	v_cmp_lt_i64_e64 s8, s[6:7], 1
	s_and_b32 vcc_lo, exec_lo, s8
	s_cbranch_vccnz .LBB17_45
; %bb.39:
	s_load_b128 s[8:11], s[0:1], 0x30
	v_cmp_lt_i64_e64 s1, s[6:7], 32
	v_mul_u32_u24_e32 v0, 40, v0
	s_waitcnt lgkmcnt(0)
	s_mul_i32 s13, s13, s10
	s_ashr_i32 s10, s9, 31
	s_ashr_i32 s16, s8, 31
	s_mul_hi_u32 s11, s14, s9
	s_mul_hi_u32 s17, s2, s8
	s_mul_i32 s10, s14, s10
	s_mul_i32 s16, s2, s16
	;; [unrolled: 1-line block ×4, first 2 shown]
	s_add_i32 s10, s11, s10
	s_add_i32 s11, s17, s16
	s_ashr_i32 s0, s9, 2
	s_ashr_i32 s12, s13, 31
	s_add_i32 s16, s10, s15
	s_add_i32 s15, s11, s3
	s_and_b32 s1, s1, exec_lo
	s_cselect_b32 s11, s7, 0
	s_cselect_b32 s10, s6, 32
	s_ashr_i32 s1, s0, 31
	v_cmp_gt_i64_e64 s11, s[10:11], 1
	s_mul_i32 s17, s14, s9
	s_mul_i32 s14, s2, s8
	s_mov_b32 s3, 0
	s_delay_alu instid0(VALU_DEP_1)
	s_and_b32 s2, s11, exec_lo
	s_cselect_b32 s18, s10, 1
	s_cmp_eq_u64 s[6:7], 1
	s_mov_b64 s[6:7], 0
	s_cbranch_scc1 .LBB17_43
; %bb.40:
	v_lshl_add_u32 v16, v0, 2, 0
	s_and_b32 s2, s18, 62
	s_lshl_b64 s[6:7], s[0:1], 2
	s_add_u32 s8, s14, s17
	s_addc_u32 s9, s15, s16
	ds_load_b32 v10, v16
	s_add_u32 s10, s4, s13
	s_addc_u32 s11, s5, s12
	s_add_u32 s8, s10, s8
	s_addc_u32 s9, s11, s9
	v_add_co_u32 v11, s8, s8, v13
	s_delay_alu instid0(VALU_DEP_1)
	v_add_co_ci_u32_e64 v12, null, s9, 0, s8
	s_lshl_b64 s[8:9], s[0:1], 3
	s_mov_b64 s[10:11], 0
	s_set_inst_prefetch_distance 0x1
	.p2align	6
.LBB17_41:                              ; =>This Inner Loop Header: Depth=1
	s_waitcnt vmcnt(0) lgkmcnt(0)
	v_fma_f32 v25, v5, v10, 0
	ds_load_2addr_b32 v[9:10], v16 offset0:1 offset1:2
	ds_load_2addr_b32 v[17:18], v16 offset0:3 offset1:4
	;; [unrolled: 1-line block ×4, first 2 shown]
	ds_load_b32 v27, v16 offset:36
	v_add_nc_u32_e32 v26, 8, v16
	v_add_co_u32 v23, vcc_lo, v11, s6
	v_add_co_ci_u32_e32 v24, vcc_lo, s7, v12, vcc_lo
	s_add_u32 s10, s10, 2
	s_addc_u32 s11, s11, 0
	s_delay_alu instid0(SALU_CYCLE_1) | instskip(SKIP_3) | instid1(VALU_DEP_2)
	s_cmp_lg_u64 s[2:3], s[10:11]
	s_waitcnt lgkmcnt(4)
	v_fmac_f32_e32 v25, v6, v9
	v_fma_f32 v9, v5, v9, 0
	v_dual_mov_b32 v16, v26 :: v_dual_fmac_f32 v25, v7, v10
	s_delay_alu instid0(VALU_DEP_2) | instskip(SKIP_1) | instid1(VALU_DEP_2)
	v_fmac_f32_e32 v9, v6, v10
	s_waitcnt lgkmcnt(3)
	v_fmac_f32_e32 v25, v8, v17
	s_delay_alu instid0(VALU_DEP_2) | instskip(NEXT) | instid1(VALU_DEP_2)
	v_fmac_f32_e32 v9, v7, v17
	v_fmac_f32_e32 v25, v1, v18
	s_delay_alu instid0(VALU_DEP_2) | instskip(SKIP_1) | instid1(VALU_DEP_2)
	v_fmac_f32_e32 v9, v8, v18
	s_waitcnt lgkmcnt(2)
	v_fmac_f32_e32 v25, v2, v19
	s_delay_alu instid0(VALU_DEP_2) | instskip(NEXT) | instid1(VALU_DEP_2)
	v_fmac_f32_e32 v9, v1, v19
	v_fmac_f32_e32 v25, v3, v20
	;; [unrolled: 7-line block ×3, first 2 shown]
	s_delay_alu instid0(VALU_DEP_2) | instskip(NEXT) | instid1(VALU_DEP_2)
	v_fmac_f32_e32 v9, v4, v22
	v_add_f32_e32 v17, v15, v25
	s_waitcnt lgkmcnt(0)
	s_delay_alu instid0(VALU_DEP_2)
	v_fmac_f32_e32 v9, v14, v27
	global_store_b32 v[11:12], v17, off
	v_add_co_u32 v11, vcc_lo, v11, s8
	v_add_f32_e32 v9, v15, v9
	v_add_co_ci_u32_e32 v12, vcc_lo, s9, v12, vcc_lo
	global_store_b32 v[23:24], v9, off
	s_cbranch_scc1 .LBB17_41
; %bb.42:
	s_set_inst_prefetch_distance 0x2
	s_mov_b64 s[6:7], s[2:3]
.LBB17_43:
	s_and_b32 s2, s18, 1
	s_mov_b32 s3, 0
	s_delay_alu instid0(SALU_CYCLE_1)
	s_cmp_eq_u64 s[2:3], 0
	s_cbranch_scc1 .LBB17_45
; %bb.44:
	v_add_nc_u32_e32 v0, s6, v0
	s_add_u32 s2, s4, s13
	s_addc_u32 s3, s5, s12
	s_add_u32 s2, s2, s17
	s_mul_hi_i32 s1, s6, s0
	v_lshl_add_u32 v0, v0, 2, 0
	s_mul_i32 s0, s6, s0
	s_addc_u32 s3, s3, s16
	s_add_u32 s2, s2, s14
	s_addc_u32 s3, s3, s15
	ds_load_2addr_b32 v[9:10], v0 offset1:1
	ds_load_2addr_b32 v[11:12], v0 offset0:2 offset1:3
	ds_load_2addr_b32 v[16:17], v0 offset0:4 offset1:5
	;; [unrolled: 1-line block ×3, first 2 shown]
	ds_load_b32 v0, v0 offset:32
	s_lshl_b64 s[0:1], s[0:1], 2
	s_delay_alu instid0(SALU_CYCLE_1) | instskip(SKIP_3) | instid1(VALU_DEP_1)
	s_add_u32 s0, s0, s2
	s_addc_u32 s1, s1, s3
	s_waitcnt vmcnt(0) lgkmcnt(4)
	v_fma_f32 v5, v5, v9, 0
	v_fmac_f32_e32 v5, v6, v10
	s_waitcnt lgkmcnt(3)
	s_delay_alu instid0(VALU_DEP_1) | instskip(NEXT) | instid1(VALU_DEP_1)
	v_fmac_f32_e32 v5, v7, v11
	v_fmac_f32_e32 v5, v8, v12
	s_waitcnt lgkmcnt(2)
	s_delay_alu instid0(VALU_DEP_1) | instskip(NEXT) | instid1(VALU_DEP_1)
	v_fmac_f32_e32 v5, v1, v16
	;; [unrolled: 4-line block ×4, first 2 shown]
	v_add_f32_e32 v0, v15, v5
	global_store_b32 v13, v0, s[0:1]
.LBB17_45:
	s_nop 0
	s_sendmsg sendmsg(MSG_DEALLOC_VGPRS)
	s_endpgm
	.section	.rodata,"a",@progbits
	.p2align	6, 0x0
	.amdhsa_kernel _ZL23ssm_conv_long_token_f32ILb0ELm128ELm9ELl32EEvPKfS1_S1_iiiiPfiiil
		.amdhsa_group_segment_fixed_size 0
		.amdhsa_private_segment_fixed_size 0
		.amdhsa_kernarg_size 72
		.amdhsa_user_sgpr_count 13
		.amdhsa_user_sgpr_dispatch_ptr 0
		.amdhsa_user_sgpr_queue_ptr 0
		.amdhsa_user_sgpr_kernarg_segment_ptr 1
		.amdhsa_user_sgpr_dispatch_id 0
		.amdhsa_user_sgpr_private_segment_size 0
		.amdhsa_wavefront_size32 1
		.amdhsa_uses_dynamic_stack 0
		.amdhsa_enable_private_segment 0
		.amdhsa_system_sgpr_workgroup_id_x 1
		.amdhsa_system_sgpr_workgroup_id_y 1
		.amdhsa_system_sgpr_workgroup_id_z 1
		.amdhsa_system_sgpr_workgroup_info 0
		.amdhsa_system_vgpr_workitem_id 0
		.amdhsa_next_free_vgpr 92
		.amdhsa_next_free_sgpr 19
		.amdhsa_reserve_vcc 1
		.amdhsa_float_round_mode_32 0
		.amdhsa_float_round_mode_16_64 0
		.amdhsa_float_denorm_mode_32 3
		.amdhsa_float_denorm_mode_16_64 3
		.amdhsa_dx10_clamp 1
		.amdhsa_ieee_mode 1
		.amdhsa_fp16_overflow 0
		.amdhsa_workgroup_processor_mode 1
		.amdhsa_memory_ordered 1
		.amdhsa_forward_progress 0
		.amdhsa_shared_vgpr_count 0
		.amdhsa_exception_fp_ieee_invalid_op 0
		.amdhsa_exception_fp_denorm_src 0
		.amdhsa_exception_fp_ieee_div_zero 0
		.amdhsa_exception_fp_ieee_overflow 0
		.amdhsa_exception_fp_ieee_underflow 0
		.amdhsa_exception_fp_ieee_inexact 0
		.amdhsa_exception_int_div_zero 0
	.end_amdhsa_kernel
	.section	.text._ZL23ssm_conv_long_token_f32ILb0ELm128ELm9ELl32EEvPKfS1_S1_iiiiPfiiil,"axG",@progbits,_ZL23ssm_conv_long_token_f32ILb0ELm128ELm9ELl32EEvPKfS1_S1_iiiiPfiiil,comdat
.Lfunc_end17:
	.size	_ZL23ssm_conv_long_token_f32ILb0ELm128ELm9ELl32EEvPKfS1_S1_iiiiPfiiil, .Lfunc_end17-_ZL23ssm_conv_long_token_f32ILb0ELm128ELm9ELl32EEvPKfS1_S1_iiiiPfiiil
                                        ; -- End function
	.section	.AMDGPU.csdata,"",@progbits
; Kernel info:
; codeLenInByte = 7484
; NumSgprs: 21
; NumVgprs: 92
; ScratchSize: 0
; MemoryBound: 0
; FloatMode: 240
; IeeeMode: 1
; LDSByteSize: 0 bytes/workgroup (compile time only)
; SGPRBlocks: 2
; VGPRBlocks: 11
; NumSGPRsForWavesPerEU: 21
; NumVGPRsForWavesPerEU: 92
; Occupancy: 16
; WaveLimiterHint : 0
; COMPUTE_PGM_RSRC2:SCRATCH_EN: 0
; COMPUTE_PGM_RSRC2:USER_SGPR: 13
; COMPUTE_PGM_RSRC2:TRAP_HANDLER: 0
; COMPUTE_PGM_RSRC2:TGID_X_EN: 1
; COMPUTE_PGM_RSRC2:TGID_Y_EN: 1
; COMPUTE_PGM_RSRC2:TGID_Z_EN: 1
; COMPUTE_PGM_RSRC2:TIDIG_COMP_CNT: 0
	.section	.text._ZL12ssm_conv_f32ILb0ELm128ELm15EEvPKfS1_S1_iiiiPfiiil,"axG",@progbits,_ZL12ssm_conv_f32ILb0ELm128ELm15EEvPKfS1_S1_iiiiPfiiil,comdat
	.globl	_ZL12ssm_conv_f32ILb0ELm128ELm15EEvPKfS1_S1_iiiiPfiiil ; -- Begin function _ZL12ssm_conv_f32ILb0ELm128ELm15EEvPKfS1_S1_iiiiPfiiil
	.p2align	8
	.type	_ZL12ssm_conv_f32ILb0ELm128ELm15EEvPKfS1_S1_iiiiPfiiil,@function
_ZL12ssm_conv_f32ILb0ELm128ELm15EEvPKfS1_S1_iiiiPfiiil: ; @_ZL12ssm_conv_f32ILb0ELm128ELm15EEvPKfS1_S1_iiiiPfiiil
; %bb.0:
	s_load_b64 s[4:5], s[0:1], 0x10
	s_mov_b32 s2, s15
	s_ashr_i32 s3, s15, 31
	v_lshlrev_b32_e32 v15, 2, v0
	s_lshl_b64 s[18:19], s[2:3], 7
	s_waitcnt lgkmcnt(0)
	s_cmp_eq_u64 s[4:5], 0
	s_cbranch_scc1 .LBB18_2
; %bb.1:
	s_lshl_b64 s[6:7], s[18:19], 2
	s_delay_alu instid0(SALU_CYCLE_1)
	s_add_u32 s4, s4, s6
	s_addc_u32 s5, s5, s7
	global_load_b32 v35, v15, s[4:5]
	s_load_b64 s[12:13], s[0:1], 0x40
	s_waitcnt lgkmcnt(0)
	v_cmp_lt_i64_e64 s4, s[12:13], 1
	s_delay_alu instid0(VALU_DEP_1)
	s_and_b32 vcc_lo, exec_lo, s4
	s_cbranch_vccz .LBB18_3
	s_branch .LBB18_6
.LBB18_2:
	v_mov_b32_e32 v35, 0
	s_load_b64 s[12:13], s[0:1], 0x40
	s_waitcnt lgkmcnt(0)
	v_cmp_lt_i64_e64 s4, s[12:13], 1
	s_delay_alu instid0(VALU_DEP_1)
	s_and_b32 vcc_lo, exec_lo, s4
	s_cbranch_vccnz .LBB18_6
.LBB18_3:
	s_clause 0x1
	s_load_b128 s[8:11], s[0:1], 0x1c
	s_load_b128 s[4:7], s[0:1], 0x30
	v_alignbit_b32 v1, s3, s2, 25
	s_clause 0x1
	s_load_b64 s[16:17], s[0:1], 0x28
	s_load_b128 s[0:3], s[0:1], 0x0
	s_waitcnt lgkmcnt(0)
	s_mul_i32 s7, s14, s9
	s_ashr_i32 s9, s8, 31
	s_ashr_i32 s15, s10, 31
	s_mul_hi_u32 s22, s18, s8
	s_mul_i32 s25, s18, s9
	s_mul_hi_u32 s20, s18, s10
	s_mul_i32 s23, s19, s8
	s_mul_i32 s6, s14, s6
	;; [unrolled: 1-line block ×3, first 2 shown]
	s_add_i32 s22, s22, s25
	s_ashr_i32 s21, s10, 2
	s_ashr_i32 s14, s7, 31
	;; [unrolled: 1-line block ×3, first 2 shown]
	s_add_i32 s25, s20, s15
	s_add_i32 s20, s22, s23
	s_add_u32 s22, s16, s6
	s_addc_u32 s23, s17, s9
	s_ashr_i32 s15, s4, 31
	s_mul_hi_u32 s24, s18, s4
	s_mul_i32 s15, s18, s15
	s_mul_i32 s19, s19, s4
	s_add_i32 s15, s24, s15
	s_mul_i32 s4, s18, s4
	s_add_i32 s15, s15, s19
	s_add_u32 s22, s22, s4
	s_addc_u32 s23, s23, s15
	v_mul_lo_u32 v3, v1, s10
	s_mul_i32 s11, s18, s8
	v_mul_lo_u32 v1, s21, v0
	s_add_u32 s19, s0, s7
	s_addc_u32 s21, s1, s14
	s_add_u32 s19, s19, s11
	s_addc_u32 s21, s21, s20
	s_ashr_i32 s8, s8, 2
	v_add_nc_u32_e32 v4, s25, v3
	v_mul_lo_u32 v0, s8, v0
	v_ashrrev_i32_e32 v2, 31, v1
	s_mul_i32 s8, s18, s10
	s_cmp_eq_u64 s[12:13], 1
	v_add_co_u32 v5, vcc_lo, s2, s8
	s_delay_alu instid0(VALU_DEP_2) | instskip(SKIP_2) | instid1(VALU_DEP_3)
	v_lshlrev_b64 v[2:3], 2, v[1:2]
	v_add_co_ci_u32_e32 v4, vcc_lo, s3, v4, vcc_lo
	v_ashrrev_i32_e32 v1, 31, v0
	v_add_co_u32 v12, vcc_lo, v5, v2
	s_delay_alu instid0(VALU_DEP_2) | instskip(NEXT) | instid1(VALU_DEP_4)
	v_lshlrev_b64 v[31:32], 2, v[0:1]
	v_add_co_ci_u32_e32 v13, vcc_lo, v4, v3, vcc_lo
	s_delay_alu instid0(VALU_DEP_2) | instskip(NEXT) | instid1(VALU_DEP_3)
	v_add_co_u32 v33, vcc_lo, s19, v31
	v_add_co_ci_u32_e32 v34, vcc_lo, s21, v32, vcc_lo
	global_load_b128 v[16:19], v[12:13], off
	global_load_b128 v[0:3], v[33:34], off
	global_load_b128 v[20:23], v[12:13], off offset:16
	global_load_b128 v[4:7], v[33:34], off offset:16
	;; [unrolled: 1-line block ×4, first 2 shown]
	global_load_b96 v[28:30], v[12:13], off offset:48
	global_load_b96 v[12:14], v[33:34], off offset:48
	s_waitcnt vmcnt(6)
	v_fma_f32 v33, v16, v0, 0
	s_delay_alu instid0(VALU_DEP_1) | instskip(NEXT) | instid1(VALU_DEP_1)
	v_fmac_f32_e32 v33, v17, v1
	v_fmac_f32_e32 v33, v18, v2
	s_delay_alu instid0(VALU_DEP_1) | instskip(SKIP_1) | instid1(VALU_DEP_1)
	v_fmac_f32_e32 v33, v19, v3
	s_waitcnt vmcnt(4)
	v_fmac_f32_e32 v33, v20, v4
	s_delay_alu instid0(VALU_DEP_1) | instskip(NEXT) | instid1(VALU_DEP_1)
	v_fmac_f32_e32 v33, v21, v5
	v_fmac_f32_e32 v33, v22, v6
	s_delay_alu instid0(VALU_DEP_1) | instskip(SKIP_1) | instid1(VALU_DEP_1)
	v_fmac_f32_e32 v33, v23, v7
	s_waitcnt vmcnt(2)
	v_fmac_f32_e32 v33, v24, v8
	s_delay_alu instid0(VALU_DEP_1) | instskip(NEXT) | instid1(VALU_DEP_1)
	v_fmac_f32_e32 v33, v25, v9
	v_fmac_f32_e32 v33, v26, v10
	s_delay_alu instid0(VALU_DEP_1) | instskip(SKIP_1) | instid1(VALU_DEP_1)
	v_fmac_f32_e32 v33, v27, v11
	s_waitcnt vmcnt(0)
	v_fmac_f32_e32 v33, v28, v12
	s_delay_alu instid0(VALU_DEP_1) | instskip(NEXT) | instid1(VALU_DEP_1)
	v_fmac_f32_e32 v33, v29, v13
	v_fmac_f32_e32 v33, v30, v14
	s_delay_alu instid0(VALU_DEP_1)
	v_add_f32_e32 v33, v35, v33
	global_store_b32 v15, v33, s[22:23]
	s_cbranch_scc1 .LBB18_6
; %bb.4:
	s_ashr_i32 s2, s5, 2
                                        ; implicit-def: $vgpr46 : SGPR spill to VGPR lane
	s_mov_b64 s[18:19], 10
	s_ashr_i32 s3, s2, 31
	s_add_u32 s0, s0, s7
	s_addc_u32 s1, s1, s14
	s_add_u32 s0, s0, s11
	s_addc_u32 s1, s1, s20
	v_add_co_u32 v31, vcc_lo, s0, v31
	s_add_u32 s0, s12, -1
	v_add_co_ci_u32_e32 v32, vcc_lo, s1, v32, vcc_lo
	s_addc_u32 s1, s13, -1
	s_lshl_b64 s[2:3], s[2:3], 2
	v_add_co_u32 v31, vcc_lo, v31, 60
	s_add_u32 s4, s4, s2
	s_addc_u32 s5, s15, s3
	s_add_u32 s6, s16, s6
	s_addc_u32 s7, s17, s9
	;; [unrolled: 2-line block ×3, first 2 shown]
	v_add_co_u32 v33, s4, s4, v15
	v_writelane_b32 v46, s0, 0
	v_add_co_ci_u32_e32 v32, vcc_lo, 0, v32, vcc_lo
	v_add_co_ci_u32_e64 v34, null, s5, 0, s4
	s_mov_b64 s[4:5], 1
	s_mov_b64 s[6:7], 0
	;; [unrolled: 1-line block ×15, first 2 shown]
	v_writelane_b32 v46, s1, 1
.LBB18_5:                               ; =>This Inner Loop Header: Depth=1
	s_add_u32 s33, 0, 0x11108400
	s_addc_u32 s38, 0, 49
	s_mul_hi_u32 s40, s33, -15
	s_add_i32 s38, s38, 0x111110e0
	s_sub_i32 s40, s40, s33
	s_mul_i32 s43, s38, -15
	s_mul_i32 s39, s33, -15
	s_add_i32 s40, s40, s43
	s_mul_hi_u32 s41, s33, s39
	s_mul_i32 s44, s33, s40
	s_mul_hi_u32 s43, s33, s40
	s_mul_hi_u32 s42, s38, s39
	s_mul_i32 s39, s38, s39
	s_add_u32 s41, s41, s44
	s_addc_u32 s43, 0, s43
	s_mul_hi_u32 s45, s38, s40
	s_add_u32 s39, s41, s39
	s_mul_i32 s40, s38, s40
	s_addc_u32 s39, s43, s42
	s_addc_u32 s41, s45, 0
	s_add_u32 s39, s39, s40
	s_addc_u32 s40, 0, s41
	v_add_co_u32 v36, s33, s33, s39
	s_delay_alu instid0(VALU_DEP_1)
	s_cmp_lg_u32 s33, 0
	global_load_b32 v15, v[31:32], off
	s_addc_u32 s43, s38, s40
	v_readfirstlane_b32 s65, v36
	s_mul_i32 s42, s4, s43
	s_mul_hi_u32 s41, s4, s43
	s_mul_hi_u32 s76, s5, s43
	s_mul_i32 s82, s5, s43
	s_mul_hi_u32 s100, s4, s65
	s_mul_i32 s85, s8, s43
	s_add_u32 s42, s100, s42
	s_mul_i32 s100, s5, s65
	s_addc_u32 s41, 0, s41
	s_add_u32 s42, s42, s100
	s_mul_hi_u32 s42, s5, s65
	s_mul_hi_u32 s84, s8, s43
	s_addc_u32 s41, s41, s42
	s_addc_u32 s42, s76, 0
	s_add_u32 s76, s41, s82
	s_addc_u32 s41, 0, s42
	s_mul_i32 s82, s76, 15
	s_mul_hi_u32 s42, s76, 15
	v_sub_co_u32 v36, s82, s4, s82
	s_mul_i32 s41, s41, 15
	s_mul_hi_u32 s86, s9, s43
	s_add_i32 s42, s42, s41
	s_delay_alu instid0(VALU_DEP_1) | instskip(SKIP_3) | instid1(VALU_DEP_1)
	v_sub_co_u32 v37, s41, v36, 15
	s_cmp_lg_u32 s82, 0
	s_mul_i32 s87, s9, s43
	s_subb_u32 s42, s5, s42
	v_readfirstlane_b32 s82, v37
	s_cmp_lg_u32 s41, 0
	s_mul_i32 s89, s10, s43
	s_subb_u32 s41, s42, 0
	s_mul_hi_u32 s88, s10, s43
	s_cmp_gt_u32 s82, 14
	s_mul_hi_u32 s90, s11, s43
	s_cselect_b32 s82, -1, 0
	s_cmp_eq_u32 s41, 0
	s_mul_i32 s91, s11, s43
	s_cselect_b32 s41, s82, -1
	s_add_i32 s82, s76, 1
	s_add_i32 s100, s76, 2
	s_cmp_lg_u32 s41, 0
	s_mul_i32 s93, s12, s43
	s_cselect_b32 s82, s100, s82
	v_readfirstlane_b32 s100, v36
	s_mul_hi_u32 s92, s12, s43
	s_mul_hi_u32 s94, s13, s43
	s_mul_i32 s95, s13, s43
	s_mul_i32 s97, s14, s43
	s_cmp_gt_u32 s100, 14
	s_mul_hi_u32 s96, s14, s43
	s_cselect_b32 s100, -1, 0
	s_cmp_eq_u32 s42, 0
	s_mul_hi_u32 s98, s15, s43
	s_cselect_b32 s100, s100, -1
	s_mul_i32 s99, s15, s43
	s_cmp_lg_u32 s100, 0
	s_mul_hi_u32 s100, s8, s65
	s_cselect_b32 s76, s82, s76
	s_add_u32 s85, s100, s85
	s_mul_i32 s100, s9, s65
	s_mul_hi_u32 s82, s9, s65
	s_addc_u32 s84, 0, s84
	s_add_u32 s85, s85, s100
	s_addc_u32 s82, s84, s82
	s_addc_u32 s84, s86, 0
	s_add_u32 s82, s82, s87
	s_addc_u32 s84, 0, s84
	s_mul_i32 s87, s82, 15
	s_mul_hi_u32 s86, s82, 15
	s_mul_i32 s84, s84, 15
	v_sub_co_u32 v36, s87, s8, s87
	s_add_i32 s86, s86, s84
	s_cmp_lg_u32 s87, 0
	s_mul_hi_u32 s85, s10, s65
	s_subb_u32 s84, s9, s86
	v_sub_co_u32 v37, s86, v36, 15
	s_delay_alu instid0(VALU_DEP_1) | instskip(SKIP_2) | instid1(VALU_DEP_1)
	s_cmp_lg_u32 s86, 0
	s_mul_i32 s83, s16, s43
	s_subb_u32 s86, s84, 0
	v_readfirstlane_b32 s87, v37
	s_mul_hi_u32 s81, s16, s43
	s_mul_hi_u32 s79, s17, s43
	s_mul_i32 s80, s17, s43
	s_mul_i32 s78, s18, s43
	s_cmp_gt_u32 s87, 14
	s_mul_hi_u32 s77, s18, s43
	s_cselect_b32 s87, -1, 0
	s_cmp_eq_u32 s86, 0
	s_mul_hi_u32 s74, s19, s43
	s_cselect_b32 s86, s87, -1
	s_add_i32 s87, s82, 1
	s_add_i32 s100, s82, 2
	s_cmp_lg_u32 s86, 0
	s_mul_hi_u32 s86, s11, s65
	s_cselect_b32 s87, s100, s87
	v_readfirstlane_b32 s100, v36
	s_mul_i32 s75, s19, s43
	s_mul_i32 s0, s20, s43
	s_mul_hi_u32 s72, s20, s43
	s_mul_hi_u32 s101, s21, s65
	s_cmp_gt_u32 s100, 14
	s_mul_hi_u32 s70, s21, s43
	s_cselect_b32 s100, -1, 0
	s_cmp_eq_u32 s84, 0
	s_mul_i32 s84, s11, s65
	s_cselect_b32 s100, s100, -1
	s_mul_i32 s71, s21, s43
	s_cmp_lg_u32 s100, 0
	s_mul_hi_u32 s100, s12, s65
	s_cselect_b32 s82, s87, s82
	s_add_u32 s85, s85, s89
	s_addc_u32 s88, 0, s88
	s_add_u32 s84, s85, s84
	s_addc_u32 s85, s88, s86
	s_addc_u32 s86, s90, 0
	s_add_u32 s85, s85, s91
	s_addc_u32 s86, 0, s86
	s_mul_i32 s90, s85, 15
	s_mul_hi_u32 s88, s85, 15
	s_mul_i32 s86, s86, 15
	v_sub_co_u32 v36, s90, s10, s90
	s_add_i32 s88, s88, s86
	s_cmp_lg_u32 s90, 0
	s_mul_i32 s89, s13, s65
	s_subb_u32 s86, s11, s88
	v_sub_co_u32 v37, s88, v36, 15
	s_delay_alu instid0(VALU_DEP_1) | instskip(SKIP_2) | instid1(VALU_DEP_1)
	s_cmp_lg_u32 s88, 0
	s_mul_hi_u32 s87, s13, s65
	s_subb_u32 s88, s86, 0
	v_readfirstlane_b32 s90, v37
	s_mul_hi_u32 s84, s14, s65
	s_mul_i32 s69, s22, s43
	s_mul_hi_u32 s68, s22, s43
	s_mul_hi_u32 s66, s23, s43
	s_cmp_gt_u32 s90, 14
	s_mul_i32 s67, s23, s43
	s_cselect_b32 s90, -1, 0
	s_cmp_eq_u32 s88, 0
	v_add_co_u32 v31, vcc_lo, v31, 4
	s_cselect_b32 s88, s90, -1
	s_add_i32 s90, s85, 1
	s_add_i32 s91, s85, 2
	s_cmp_lg_u32 s88, 0
	s_mul_hi_u32 s88, s15, s65
	s_cselect_b32 s90, s91, s90
	v_readfirstlane_b32 s91, v36
	v_add_co_ci_u32_e32 v32, vcc_lo, 0, v32, vcc_lo
	s_mul_hi_u32 s103, s25, s65
	s_mul_hi_u32 s104, s27, s65
	s_delay_alu instid0(VALU_DEP_2)
	s_cmp_gt_u32 s91, 14
	s_mul_i32 vcc_lo, s27, s65
	s_cselect_b32 s91, -1, 0
	s_cmp_eq_u32 s86, 0
	s_mul_i32 s86, s15, s65
	s_cselect_b32 s91, s91, -1
	s_mul_hi_u32 vcc_hi, s28, s65
	s_cmp_lg_u32 s91, 0
	s_mul_hi_u32 s91, s16, s65
	s_cselect_b32 s90, s90, s85
	s_add_u32 s93, s100, s93
	s_addc_u32 s92, 0, s92
	s_add_u32 s89, s93, s89
	s_addc_u32 s87, s92, s87
	s_addc_u32 s92, s94, 0
	s_add_u32 s87, s87, s95
	s_addc_u32 s92, 0, s92
	s_mul_i32 s94, s87, 15
	s_mul_hi_u32 s93, s87, 15
	s_mul_i32 s92, s92, 15
	v_sub_co_u32 v36, s94, s12, s94
	s_add_i32 s93, s93, s92
	s_cmp_lg_u32 s94, 0
	s_mul_i32 s100, s17, s65
	s_subb_u32 s92, s13, s93
	v_sub_co_u32 v37, s93, v36, 15
	s_delay_alu instid0(VALU_DEP_1) | instskip(SKIP_2) | instid1(VALU_DEP_1)
	s_cmp_lg_u32 s93, 0
	s_mul_hi_u32 s85, s17, s65
	s_subb_u32 s93, s92, 0
	v_readfirstlane_b32 s94, v37
	s_mul_hi_u32 s89, s18, s65
	s_mul_hi_u32 s1, s29, s65
	s_mul_i32 s64, s24, s43
	s_mul_hi_u32 s63, s24, s43
	s_cmp_gt_u32 s94, 14
	s_mul_hi_u32 s61, s25, s43
	s_cselect_b32 s94, -1, 0
	s_cmp_eq_u32 s93, 0
	s_mul_i32 s62, s25, s43
	s_cselect_b32 s93, s94, -1
	s_add_i32 s94, s87, 1
	s_add_i32 s95, s87, 2
	s_cmp_lg_u32 s93, 0
	s_mul_hi_u32 s93, s19, s65
	s_cselect_b32 s94, s95, s94
	v_readfirstlane_b32 s95, v36
	s_mul_i32 s60, s26, s43
	s_mul_hi_u32 s59, s26, s43
	s_mul_hi_u32 s57, s27, s43
	s_mul_i32 s58, s27, s43
	s_cmp_gt_u32 s95, 14
	s_mul_i32 s56, s28, s43
	s_cselect_b32 s95, -1, 0
	s_cmp_eq_u32 s92, 0
	s_mul_i32 s92, s19, s65
	s_cselect_b32 s95, s95, -1
	s_mul_hi_u32 s55, s28, s43
	s_cmp_lg_u32 s95, 0
	s_mul_hi_u32 s95, s20, s65
	s_cselect_b32 s94, s94, s87
	s_add_u32 s84, s84, s97
	s_addc_u32 s87, 0, s96
	s_add_u32 s84, s84, s86
	s_addc_u32 s84, s87, s88
	s_addc_u32 s86, s98, 0
	s_add_u32 s84, s84, s99
	s_addc_u32 s86, 0, s86
	s_mul_i32 s88, s84, 15
	s_mul_hi_u32 s87, s84, 15
	s_mul_i32 s86, s86, 15
	v_sub_co_u32 v36, s88, s14, s88
	s_add_i32 s87, s87, s86
	s_cmp_lg_u32 s88, 0
	s_mul_i32 s97, s21, s65
	s_subb_u32 s86, s15, s87
	v_sub_co_u32 v37, s87, v36, 15
	s_delay_alu instid0(VALU_DEP_1) | instskip(SKIP_2) | instid1(VALU_DEP_1)
	s_cmp_lg_u32 s87, 0
	s_mul_hi_u32 s96, s22, s65
	s_subb_u32 s87, s86, 0
	v_readfirstlane_b32 s88, v37
	s_mul_hi_u32 s99, s23, s65
	s_mul_hi_u32 s53, s29, s43
	s_mul_i32 s54, s29, s43
	s_mul_i32 s52, s30, s43
	s_cmp_gt_u32 s88, 14
	s_mul_hi_u32 s51, s30, s43
	s_cselect_b32 s88, -1, 0
	s_cmp_eq_u32 s87, 0
	s_mul_hi_u32 s49, s31, s43
	s_cselect_b32 s87, s88, -1
	s_add_i32 s88, s84, 1
	s_add_i32 s98, s84, 2
	s_cmp_lg_u32 s87, 0
	s_mul_i32 s50, s31, s43
	s_cselect_b32 s87, s98, s88
	v_readfirstlane_b32 s88, v36
	s_mul_i32 s98, s23, s65
	s_mul_i32 s48, s34, s43
	s_mul_hi_u32 s47, s34, s43
	s_mul_hi_u32 s45, s35, s43
	s_cmp_gt_u32 s88, 14
	s_mul_i32 s46, s35, s43
	s_cselect_b32 s88, -1, 0
	s_cmp_eq_u32 s86, 0
	s_mul_i32 s44, s36, s43
	s_cselect_b32 s86, s88, -1
	s_mul_hi_u32 s88, s24, s65
	s_cmp_lg_u32 s86, 0
	s_mul_i32 s86, s35, s65
	s_cselect_b32 s102, s87, s84
	s_add_u32 s83, s91, s83
	s_addc_u32 s81, 0, s81
	s_add_u32 s83, s83, s100
	s_addc_u32 s81, s81, s85
	s_addc_u32 s79, s79, 0
	s_add_u32 s80, s81, s80
	s_addc_u32 s79, 0, s79
	s_mul_i32 s83, s80, 15
	s_mul_hi_u32 s81, s80, 15
	s_mul_i32 s79, s79, 15
	v_sub_co_u32 v36, s83, s16, s83
	s_add_i32 s81, s81, s79
	s_cmp_lg_u32 s83, 0
	s_mul_i32 s91, s25, s65
	s_subb_u32 s79, s17, s81
	v_sub_co_u32 v37, s81, v36, 15
	s_delay_alu instid0(VALU_DEP_1) | instskip(SKIP_2) | instid1(VALU_DEP_1)
	s_cmp_lg_u32 s81, 0
	s_mul_hi_u32 s100, s26, s65
	s_subb_u32 s81, s79, 0
	v_readfirstlane_b32 s83, v37
	s_mul_hi_u32 s87, s30, s65
	s_mul_hi_u32 s85, s34, s65
	;; [unrolled: 1-line block ×4, first 2 shown]
	s_cmp_gt_u32 s83, 14
	s_mul_i32 s39, s37, s43
	s_cselect_b32 s83, -1, 0
	s_cmp_eq_u32 s81, 0
	s_mul_i32 s41, s6, s43
	s_cselect_b32 s81, s83, -1
	s_add_i32 s83, s80, 1
	s_add_i32 s84, s80, 2
	s_cmp_lg_u32 s81, 0
	s_mul_hi_u32 s33, s6, s43
	s_cselect_b32 s81, s84, s83
	v_readfirstlane_b32 s83, v36
	s_mul_i32 s84, s37, s65
	s_mul_hi_u32 s42, s7, s43
	s_mul_i32 s43, s7, s43
	s_delay_alu instid0(VALU_DEP_1)
	s_cmp_gt_u32 s83, 14
	s_cselect_b32 s83, -1, 0
	s_cmp_eq_u32 s79, 0
	s_cselect_b32 s79, s83, -1
	s_mul_hi_u32 s83, s35, s65
	s_cmp_lg_u32 s79, 0
	s_cselect_b32 s73, s81, s80
	s_add_u32 s78, s89, s78
	s_addc_u32 s77, 0, s77
	s_add_u32 s78, s78, s92
	s_addc_u32 s77, s77, s93
	s_addc_u32 s74, s74, 0
	s_add_u32 s75, s77, s75
	s_addc_u32 s74, 0, s74
	s_mul_i32 s78, s75, 15
	s_mul_hi_u32 s77, s75, 15
	s_mul_i32 s74, s74, 15
	v_sub_co_u32 v36, s78, s18, s78
	s_add_i32 s77, s77, s74
	s_cmp_lg_u32 s78, 0
	s_mul_i32 s89, s29, s65
	s_subb_u32 s74, s19, s77
	v_sub_co_u32 v37, s77, v36, 15
	s_delay_alu instid0(VALU_DEP_1) | instskip(SKIP_2) | instid1(VALU_DEP_1)
	s_cmp_lg_u32 s77, 0
	s_mul_hi_u32 s92, s31, s65
	s_subb_u32 s77, s74, 0
	v_readfirstlane_b32 s78, v37
	s_mul_i32 s93, s31, s65
	s_mul_hi_u32 s80, s36, s65
	s_mul_hi_u32 s81, s37, s65
	s_mul_i32 s73, s73, 15
	s_cmp_gt_u32 s78, 14
	s_cselect_b32 s78, -1, 0
	s_cmp_eq_u32 s77, 0
	s_cselect_b32 s77, s78, -1
	s_add_i32 s78, s75, 1
	s_add_i32 s79, s75, 2
	s_cmp_lg_u32 s77, 0
	s_cselect_b32 s77, s79, s78
	v_readfirstlane_b32 s78, v36
	s_mul_i32 s79, s7, s65
	s_delay_alu instid0(VALU_DEP_1)
	s_cmp_gt_u32 s78, 14
	s_cselect_b32 s78, -1, 0
	s_cmp_eq_u32 s74, 0
	s_cselect_b32 s74, s78, -1
	s_mul_hi_u32 s78, s6, s65
	s_cmp_lg_u32 s74, 0
	s_cselect_b32 s74, s77, s75
	s_add_u32 s0, s95, s0
	s_addc_u32 s72, 0, s72
	s_add_u32 s0, s0, s97
	s_addc_u32 s0, s72, s101
	s_addc_u32 s70, s70, 0
	s_add_u32 s0, s0, s71
	s_addc_u32 s70, 0, s70
	s_mul_i32 s72, s0, 15
	s_mul_hi_u32 s71, s0, 15
	s_mul_i32 s70, s70, 15
	v_sub_co_u32 v36, s72, s20, s72
	s_add_i32 s71, s71, s70
	s_cmp_lg_u32 s72, 0
	s_mul_hi_u32 s77, s7, s65
	s_subb_u32 s70, s21, s71
	v_sub_co_u32 v37, s71, v36, 15
	s_delay_alu instid0(VALU_DEP_1) | instskip(SKIP_2) | instid1(VALU_DEP_1)
	s_cmp_lg_u32 s71, 0
	s_mul_i32 s65, s82, 15
	s_subb_u32 s71, s70, 0
	v_readfirstlane_b32 s72, v37
	s_mul_i32 s74, s74, 15
	s_delay_alu instid0(VALU_DEP_1)
	s_cmp_gt_u32 s72, 14
	s_cselect_b32 s72, -1, 0
	s_cmp_eq_u32 s71, 0
	s_cselect_b32 s71, s72, -1
	s_add_i32 s72, s0, 1
	s_add_i32 s75, s0, 2
	s_cmp_lg_u32 s71, 0
	s_cselect_b32 s71, s75, s72
	v_readfirstlane_b32 s72, v36
	s_mul_i32 s75, s76, 15
	s_delay_alu instid0(VALU_DEP_1)
	s_cmp_gt_u32 s72, 14
	s_cselect_b32 s72, -1, 0
	s_cmp_eq_u32 s70, 0
	s_cselect_b32 s70, s72, -1
	s_mul_i32 s72, s102, 15
	s_cmp_lg_u32 s70, 0
	s_mul_i32 s70, s90, 15
	s_cselect_b32 s0, s71, s0
	s_add_u32 s69, s96, s69
	s_addc_u32 s76, 0, s68
	s_mul_i32 s68, s0, 15
	s_add_u32 s0, s69, s98
	s_addc_u32 s0, s76, s99
	s_addc_u32 s66, s66, 0
	s_add_u32 s0, s0, s67
	s_addc_u32 s66, 0, s66
	s_mul_i32 s69, s0, 15
	s_mul_hi_u32 s67, s0, 15
	s_mul_i32 s66, s66, 15
	v_sub_co_u32 v36, s69, s22, s69
	s_add_i32 s67, s67, s66
	s_cmp_lg_u32 s69, 0
	s_mul_i32 s71, s94, 15
	s_subb_u32 s66, s23, s67
	v_sub_co_u32 v37, s67, v36, 15
	s_delay_alu instid0(VALU_DEP_1) | instskip(SKIP_2) | instid1(VALU_DEP_2)
	s_cmp_lg_u32 s67, 0
	v_readfirstlane_b32 s69, v36
	s_subb_u32 s67, s66, 0
	v_readfirstlane_b32 s76, v37
	s_delay_alu instid0(VALU_DEP_1)
	s_cmp_gt_u32 s76, 14
	s_cselect_b32 s76, -1, 0
	s_cmp_eq_u32 s67, 0
	s_cselect_b32 s67, s76, -1
	s_add_i32 s76, s0, 1
	s_add_i32 s82, s0, 2
	s_cmp_lg_u32 s67, 0
	s_cselect_b32 s67, s82, s76
	s_cmp_gt_u32 s69, 14
	s_cselect_b32 s69, -1, 0
	s_cmp_eq_u32 s66, 0
	s_cselect_b32 s66, s69, -1
	s_delay_alu instid0(SALU_CYCLE_1)
	s_cmp_lg_u32 s66, 0
	s_cselect_b32 s0, s67, s0
	s_add_u32 s64, s88, s64
	s_addc_u32 s66, 0, s63
	s_mul_i32 s63, s0, 15
	s_add_u32 s0, s64, s91
	s_addc_u32 s0, s66, s103
	s_addc_u32 s61, s61, 0
	s_add_u32 s0, s0, s62
	s_addc_u32 s61, 0, s61
	s_mul_i32 s64, s0, 15
	s_mul_hi_u32 s62, s0, 15
	s_mul_i32 s61, s61, 15
	v_sub_co_u32 v36, s64, s24, s64
	s_add_i32 s62, s62, s61
	s_cmp_lg_u32 s64, 0
	s_subb_u32 s61, s25, s62
	s_delay_alu instid0(VALU_DEP_1) | instskip(NEXT) | instid1(VALU_DEP_1)
	v_sub_co_u32 v37, s62, v36, 15
	s_cmp_lg_u32 s62, 0
	v_readfirstlane_b32 s64, v36
	s_subb_u32 s62, s61, 0
	s_delay_alu instid0(VALU_DEP_2) | instskip(NEXT) | instid1(VALU_DEP_1)
	v_readfirstlane_b32 s66, v37
	s_cmp_gt_u32 s66, 14
	s_cselect_b32 s66, -1, 0
	s_cmp_eq_u32 s62, 0
	s_cselect_b32 s62, s66, -1
	s_add_i32 s66, s0, 1
	s_add_i32 s67, s0, 2
	s_cmp_lg_u32 s62, 0
	s_cselect_b32 s62, s67, s66
	s_cmp_gt_u32 s64, 14
	s_cselect_b32 s64, -1, 0
	s_cmp_eq_u32 s61, 0
	s_cselect_b32 s61, s64, -1
	s_delay_alu instid0(SALU_CYCLE_1)
	s_cmp_lg_u32 s61, 0
	s_cselect_b32 s0, s62, s0
	s_add_u32 s60, s100, s60
	s_addc_u32 s61, 0, s59
	s_mul_i32 s59, s0, 15
	s_add_u32 s0, s60, vcc_lo
	s_addc_u32 s0, s61, s104
	s_addc_u32 s57, s57, 0
	s_add_u32 s0, s0, s58
	s_addc_u32 s57, 0, s57
	s_mul_i32 s60, s0, 15
	s_mul_hi_u32 s58, s0, 15
	s_mul_i32 s57, s57, 15
	v_sub_co_u32 v36, s60, s26, s60
	s_add_i32 s58, s58, s57
	s_cmp_lg_u32 s60, 0
	s_subb_u32 s57, s27, s58
	s_delay_alu instid0(VALU_DEP_1) | instskip(NEXT) | instid1(VALU_DEP_1)
	v_sub_co_u32 v37, s58, v36, 15
	s_cmp_lg_u32 s58, 0
	v_readfirstlane_b32 s60, v36
	s_subb_u32 s58, s57, 0
	s_delay_alu instid0(VALU_DEP_2) | instskip(NEXT) | instid1(VALU_DEP_1)
	v_readfirstlane_b32 s61, v37
	s_cmp_gt_u32 s61, 14
	s_cselect_b32 s61, -1, 0
	s_cmp_eq_u32 s58, 0
	s_cselect_b32 s58, s61, -1
	s_add_i32 s61, s0, 1
	s_add_i32 s62, s0, 2
	s_cmp_lg_u32 s58, 0
	s_cselect_b32 s58, s62, s61
	s_cmp_gt_u32 s60, 14
	s_cselect_b32 s60, -1, 0
	s_cmp_eq_u32 s57, 0
	s_cselect_b32 s57, s60, -1
	s_delay_alu instid0(SALU_CYCLE_1)
	s_cmp_lg_u32 s57, 0
	s_cselect_b32 s0, s58, s0
	s_add_u32 s56, vcc_hi, s56
	s_addc_u32 s55, 0, s55
	s_add_u32 s56, s56, s89
	s_addc_u32 s1, s55, s1
	s_addc_u32 s53, s53, 0
	s_add_u32 s1, s1, s54
	s_addc_u32 s53, 0, s53
	s_mul_i32 s55, s1, 15
	s_mul_hi_u32 s54, s1, 15
	s_mul_i32 s53, s53, 15
	v_sub_co_u32 v36, s55, s28, s55
	s_add_i32 s54, s54, s53
	s_cmp_lg_u32 s55, 0
	s_mul_i32 s0, s0, 15
	s_subb_u32 s53, s29, s54
	v_sub_co_u32 v37, s54, v36, 15
	s_delay_alu instid0(VALU_DEP_1) | instskip(SKIP_2) | instid1(VALU_DEP_2)
	s_cmp_lg_u32 s54, 0
	v_readfirstlane_b32 s55, v36
	s_subb_u32 s54, s53, 0
	v_readfirstlane_b32 s56, v37
	s_delay_alu instid0(VALU_DEP_1)
	s_cmp_gt_u32 s56, 14
	s_cselect_b32 s56, -1, 0
	s_cmp_eq_u32 s54, 0
	s_cselect_b32 s54, s56, -1
	s_add_i32 s56, s1, 1
	s_add_i32 s57, s1, 2
	s_cmp_lg_u32 s54, 0
	s_cselect_b32 s54, s57, s56
	s_cmp_gt_u32 s55, 14
	s_cselect_b32 s55, -1, 0
	s_cmp_eq_u32 s53, 0
	s_cselect_b32 s53, s55, -1
	s_delay_alu instid0(SALU_CYCLE_1)
	s_cmp_lg_u32 s53, 0
	s_cselect_b32 s1, s54, s1
	s_add_u32 s52, s87, s52
	s_addc_u32 s51, 0, s51
	s_add_u32 s52, s52, s93
	s_addc_u32 s51, s51, s92
	s_addc_u32 s49, s49, 0
	s_add_u32 s50, s51, s50
	s_addc_u32 s49, 0, s49
	s_mul_i32 s52, s50, 15
	s_mul_hi_u32 s51, s50, 15
	s_mul_i32 s49, s49, 15
	v_sub_co_u32 v36, s52, s30, s52
	s_add_i32 s51, s51, s49
	s_cmp_lg_u32 s52, 0
	s_mul_i32 s1, s1, 15
	s_subb_u32 s49, s31, s51
	v_sub_co_u32 v37, s51, v36, 15
	s_delay_alu instid0(VALU_DEP_1) | instskip(SKIP_2) | instid1(VALU_DEP_2)
	s_cmp_lg_u32 s51, 0
	v_readfirstlane_b32 s52, v36
	s_subb_u32 s51, s49, 0
	v_readfirstlane_b32 s53, v37
	s_delay_alu instid0(VALU_DEP_1)
	s_cmp_gt_u32 s53, 14
	s_cselect_b32 s53, -1, 0
	s_cmp_eq_u32 s51, 0
	s_cselect_b32 s51, s53, -1
	s_add_i32 s53, s50, 1
	s_add_i32 s54, s50, 2
	s_cmp_lg_u32 s51, 0
	s_cselect_b32 s51, s54, s53
	s_cmp_gt_u32 s52, 14
	s_cselect_b32 s52, -1, 0
	s_cmp_eq_u32 s49, 0
	s_cselect_b32 s49, s52, -1
	s_delay_alu instid0(SALU_CYCLE_1)
	s_cmp_lg_u32 s49, 0
	s_cselect_b32 s49, s51, s50
	s_add_u32 s48, s85, s48
	;; [unrolled: 37-line block ×4, first 2 shown]
	s_addc_u32 s33, 0, s33
	s_add_u32 s39, s39, s79
	s_addc_u32 s33, s33, s77
	s_addc_u32 s39, s42, 0
	s_add_u32 s33, s33, s43
	s_addc_u32 s39, 0, s39
	s_mul_i32 s41, s33, 15
	s_mul_hi_u32 s40, s33, 15
	s_mul_i32 s39, s39, 15
	v_sub_co_u32 v36, s41, s6, s41
	s_add_i32 s40, s40, s39
	s_cmp_lg_u32 s41, 0
	s_mul_i32 s38, s38, 15
	s_subb_u32 s39, s7, s40
	v_sub_co_u32 v37, s40, v36, 15
	s_delay_alu instid0(VALU_DEP_1) | instskip(SKIP_2) | instid1(VALU_DEP_2)
	s_cmp_lg_u32 s40, 0
	v_readfirstlane_b32 s41, v36
	s_subb_u32 s40, s39, 0
	v_readfirstlane_b32 s42, v37
	s_delay_alu instid0(VALU_DEP_1)
	s_cmp_gt_u32 s42, 14
	s_cselect_b32 s42, -1, 0
	s_cmp_eq_u32 s40, 0
	s_cselect_b32 s40, s42, -1
	s_add_i32 s42, s33, 1
	s_add_i32 s43, s33, 2
	s_cmp_lg_u32 s40, 0
	s_cselect_b32 s40, s43, s42
	s_cmp_gt_u32 s41, 14
	s_cselect_b32 s41, -1, 0
	s_cmp_eq_u32 s39, 0
	s_cselect_b32 s39, s41, -1
	s_delay_alu instid0(SALU_CYCLE_1)
	s_cmp_lg_u32 s39, 0
	s_cselect_b32 s33, s40, s33
	s_sub_i32 s39, s6, s75
	s_mul_i32 s33, s33, -15
	s_add_i32 s39, s39, 1
	s_add_i32 s33, s6, s33
	s_add_u32 s4, s4, 1
	s_mov_b32 m0, s33
	s_addc_u32 s5, s5, 0
	s_waitcnt vmcnt(0)
	v_movreld_b32_e32 v0, v15
	s_mov_b32 m0, s39
	s_sub_i32 s38, s6, s38
	v_movrels_b32_e32 v36, v0
	s_add_i32 s38, s38, 2
	s_sub_i32 s40, s6, s45
	s_mov_b32 m0, s38
	s_add_i32 s40, s40, 3
	v_movrels_b32_e32 v37, v0
	v_fma_f32 v36, v16, v36, 0
	s_mov_b32 m0, s40
	s_sub_i32 s41, s6, s49
	v_movrels_b32_e32 v38, v0
	s_add_i32 s41, s41, 4
	v_fmac_f32_e32 v36, v17, v37
	s_mov_b32 m0, s41
	s_sub_i32 s1, s6, s1
	v_movrels_b32_e32 v39, v0
	s_add_i32 s1, s1, 5
	v_fmac_f32_e32 v36, v18, v38
	;; [unrolled: 5-line block ×10, first 2 shown]
	s_sub_i32 s49, s6, s70
	s_sub_i32 s50, s6, s65
	s_mov_b32 m0, s48
	s_add_i32 s49, s49, 14
	s_add_i32 s50, s50, 15
	s_add_u32 s6, s6, 1
	v_movrels_b32_e32 v45, v0
	v_fmac_f32_e32 v36, v27, v44
	s_addc_u32 s7, s7, 0
	s_add_u32 s8, s8, 1
	s_addc_u32 s9, s9, 0
	s_mov_b32 m0, s49
	s_add_u32 s10, s10, 1
	s_addc_u32 s11, s11, 0
	v_movrels_b32_e32 v40, v0
	v_fmac_f32_e32 v36, v28, v45
	s_add_u32 s12, s12, 1
	s_addc_u32 s13, s13, 0
	s_add_u32 s14, s14, 1
	s_mov_b32 m0, s50
	s_addc_u32 s15, s15, 0
	s_add_u32 s16, s16, 1
	v_movrels_b32_e32 v15, v0
	v_fmac_f32_e32 v36, v29, v40
	s_addc_u32 s17, s17, 0
	s_add_u32 s18, s18, 1
	s_addc_u32 s19, s19, 0
	s_add_u32 s20, s20, 1
	s_addc_u32 s21, s21, 0
	v_fmac_f32_e32 v36, v30, v15
	s_add_u32 s22, s22, 1
	s_addc_u32 s23, s23, 0
	s_add_u32 s24, s24, 1
	s_addc_u32 s25, s25, 0
	s_add_u32 s26, s26, 1
	v_add_f32_e32 v15, v35, v36
	s_addc_u32 s27, s27, 0
	s_add_u32 s28, s28, 1
	s_addc_u32 s29, s29, 0
	s_add_u32 s30, s30, 1
	v_readlane_b32 s0, v46, 0
	s_addc_u32 s31, s31, 0
	global_store_b32 v[33:34], v15, off
	v_add_co_u32 v33, vcc_lo, v33, s2
	v_readlane_b32 s1, v46, 1
	s_add_u32 s34, s34, 1
	s_addc_u32 s35, s35, 0
	v_add_co_ci_u32_e32 v34, vcc_lo, s3, v34, vcc_lo
	s_add_u32 s36, s36, 1
	s_addc_u32 s37, s37, 0
	s_cmp_eq_u64 s[0:1], s[6:7]
	s_cbranch_scc0 .LBB18_5
.LBB18_6:
	s_nop 0
	s_sendmsg sendmsg(MSG_DEALLOC_VGPRS)
	s_endpgm
	.section	.rodata,"a",@progbits
	.p2align	6, 0x0
	.amdhsa_kernel _ZL12ssm_conv_f32ILb0ELm128ELm15EEvPKfS1_S1_iiiiPfiiil
		.amdhsa_group_segment_fixed_size 0
		.amdhsa_private_segment_fixed_size 0
		.amdhsa_kernarg_size 72
		.amdhsa_user_sgpr_count 14
		.amdhsa_user_sgpr_dispatch_ptr 0
		.amdhsa_user_sgpr_queue_ptr 0
		.amdhsa_user_sgpr_kernarg_segment_ptr 1
		.amdhsa_user_sgpr_dispatch_id 0
		.amdhsa_user_sgpr_private_segment_size 0
		.amdhsa_wavefront_size32 1
		.amdhsa_uses_dynamic_stack 0
		.amdhsa_enable_private_segment 0
		.amdhsa_system_sgpr_workgroup_id_x 1
		.amdhsa_system_sgpr_workgroup_id_y 1
		.amdhsa_system_sgpr_workgroup_id_z 0
		.amdhsa_system_sgpr_workgroup_info 0
		.amdhsa_system_vgpr_workitem_id 0
		.amdhsa_next_free_vgpr 47
		.amdhsa_next_free_sgpr 105
		.amdhsa_reserve_vcc 1
		.amdhsa_float_round_mode_32 0
		.amdhsa_float_round_mode_16_64 0
		.amdhsa_float_denorm_mode_32 3
		.amdhsa_float_denorm_mode_16_64 3
		.amdhsa_dx10_clamp 1
		.amdhsa_ieee_mode 1
		.amdhsa_fp16_overflow 0
		.amdhsa_workgroup_processor_mode 1
		.amdhsa_memory_ordered 1
		.amdhsa_forward_progress 0
		.amdhsa_shared_vgpr_count 0
		.amdhsa_exception_fp_ieee_invalid_op 0
		.amdhsa_exception_fp_denorm_src 0
		.amdhsa_exception_fp_ieee_div_zero 0
		.amdhsa_exception_fp_ieee_overflow 0
		.amdhsa_exception_fp_ieee_underflow 0
		.amdhsa_exception_fp_ieee_inexact 0
		.amdhsa_exception_int_div_zero 0
	.end_amdhsa_kernel
	.section	.text._ZL12ssm_conv_f32ILb0ELm128ELm15EEvPKfS1_S1_iiiiPfiiil,"axG",@progbits,_ZL12ssm_conv_f32ILb0ELm128ELm15EEvPKfS1_S1_iiiiPfiiil,comdat
.Lfunc_end18:
	.size	_ZL12ssm_conv_f32ILb0ELm128ELm15EEvPKfS1_S1_iiiiPfiiil, .Lfunc_end18-_ZL12ssm_conv_f32ILb0ELm128ELm15EEvPKfS1_S1_iiiiPfiiil
                                        ; -- End function
	.section	.AMDGPU.csdata,"",@progbits
; Kernel info:
; codeLenInByte = 4340
; NumSgprs: 107
; NumVgprs: 47
; ScratchSize: 0
; MemoryBound: 0
; FloatMode: 240
; IeeeMode: 1
; LDSByteSize: 0 bytes/workgroup (compile time only)
; SGPRBlocks: 13
; VGPRBlocks: 5
; NumSGPRsForWavesPerEU: 107
; NumVGPRsForWavesPerEU: 47
; Occupancy: 16
; WaveLimiterHint : 0
; COMPUTE_PGM_RSRC2:SCRATCH_EN: 0
; COMPUTE_PGM_RSRC2:USER_SGPR: 14
; COMPUTE_PGM_RSRC2:TRAP_HANDLER: 0
; COMPUTE_PGM_RSRC2:TGID_X_EN: 1
; COMPUTE_PGM_RSRC2:TGID_Y_EN: 1
; COMPUTE_PGM_RSRC2:TGID_Z_EN: 0
; COMPUTE_PGM_RSRC2:TIDIG_COMP_CNT: 0
	.section	.text._ZL23ssm_conv_long_token_f32ILb0ELm128ELm15ELl32EEvPKfS1_S1_iiiiPfiiil,"axG",@progbits,_ZL23ssm_conv_long_token_f32ILb0ELm128ELm15ELl32EEvPKfS1_S1_iiiiPfiiil,comdat
	.globl	_ZL23ssm_conv_long_token_f32ILb0ELm128ELm15ELl32EEvPKfS1_S1_iiiiPfiiil ; -- Begin function _ZL23ssm_conv_long_token_f32ILb0ELm128ELm15ELl32EEvPKfS1_S1_iiiiPfiiil
	.p2align	8
	.type	_ZL23ssm_conv_long_token_f32ILb0ELm128ELm15ELl32EEvPKfS1_S1_iiiiPfiiil,@function
_ZL23ssm_conv_long_token_f32ILb0ELm128ELm15ELl32EEvPKfS1_S1_iiiiPfiiil: ; @_ZL23ssm_conv_long_token_f32ILb0ELm128ELm15ELl32EEvPKfS1_S1_iiiiPfiiil
; %bb.0:
	v_mul_u32_u24_e32 v1, 0x591, v0
	s_clause 0x1
	s_load_b128 s[4:7], s[0:1], 0x18
	s_load_b64 s[8:9], s[0:1], 0x0
	s_mov_b32 s2, s15
	v_lshrrev_b32_e32 v1, 16, v1
	s_delay_alu instid0(VALU_DEP_1) | instskip(NEXT) | instid1(VALU_DEP_1)
	v_mul_lo_u16 v2, v1, 46
	v_sub_nc_u16 v2, v0, v2
	s_waitcnt lgkmcnt(0)
	s_mul_i32 s3, s13, s6
	s_delay_alu instid0(VALU_DEP_1)
	v_or_b32_e32 v3, 0xffffff80, v2
	v_and_b32_e32 v2, 0xffff, v2
	s_ashr_i32 s6, s3, 31
	s_add_u32 s8, s8, s3
	s_addc_u32 s9, s9, s6
	v_lshrrev_b16 v4, 1, v3
	s_ashr_i32 s15, s14, 31
	s_ashr_i32 s3, s2, 31
	;; [unrolled: 1-line block ×3, first 2 shown]
	v_alignbit_b32 v7, s15, s14, 25
	v_and_b32_e32 v4, 0x7f, v4
	v_alignbit_b32 v8, s3, s2, 27
	s_ashr_i32 s10, s5, 31
	s_ashr_i32 s11, s4, 31
	v_mul_lo_u32 v7, v7, s5
	v_mul_lo_u16 v4, 0xb3, v4
	v_mul_lo_u32 v8, v8, s4
	s_lshl_b64 s[16:17], s[14:15], 7
	s_lshl_b64 s[14:15], s[2:3], 5
	s_mul_i32 s2, s16, s10
	v_lshrrev_b16 v5, 12, v4
	s_mul_hi_u32 s3, s16, s5
	s_mul_i32 s11, s14, s11
	s_mul_hi_u32 s12, s14, s4
	s_add_i32 s3, s3, s2
	v_mul_lo_u16 v4, v5, 46
	v_and_b32_e32 v5, 0xffff, v5
	s_add_i32 s12, s12, s11
	v_add_nc_u32_e32 v26, s3, v7
	s_mul_i32 s10, s16, s5
	v_sub_nc_u16 v6, v3, v4
	v_add_nc_u32_e32 v27, v1, v5
	v_add_nc_u32_e32 v5, s12, v8
	s_mul_i32 s18, s14, s4
	s_mov_b32 s2, exec_lo
	v_or_b32_e32 v3, 0xffffff80, v6
	v_and_b32_e32 v6, 0xff, v6
	s_delay_alu instid0(VALU_DEP_2) | instskip(NEXT) | instid1(VALU_DEP_1)
	v_lshrrev_b16 v4, 1, v3
	v_and_b32_e32 v4, 0x7f, v4
	s_delay_alu instid0(VALU_DEP_1) | instskip(NEXT) | instid1(VALU_DEP_1)
	v_mul_lo_u16 v4, 0xb3, v4
	v_lshrrev_b16 v11, 12, v4
	s_delay_alu instid0(VALU_DEP_1) | instskip(NEXT) | instid1(VALU_DEP_1)
	v_mul_lo_u16 v4, v11, 46
	v_sub_nc_u16 v12, v3, v4
	s_delay_alu instid0(VALU_DEP_1) | instskip(NEXT) | instid1(VALU_DEP_1)
	v_or_b32_e32 v3, 0xffffff80, v12
	v_lshrrev_b16 v4, 1, v3
	s_delay_alu instid0(VALU_DEP_1) | instskip(NEXT) | instid1(VALU_DEP_1)
	v_and_b32_e32 v4, 0x7f, v4
	v_mul_lo_u16 v4, 0xb3, v4
	s_delay_alu instid0(VALU_DEP_1) | instskip(NEXT) | instid1(VALU_DEP_1)
	v_lshrrev_b16 v13, 12, v4
	v_mul_lo_u16 v4, v13, 46
	s_delay_alu instid0(VALU_DEP_1) | instskip(NEXT) | instid1(VALU_DEP_1)
	v_sub_nc_u16 v14, v3, v4
	v_or_b32_e32 v3, 0xffffff80, v14
	s_delay_alu instid0(VALU_DEP_1) | instskip(NEXT) | instid1(VALU_DEP_1)
	v_lshrrev_b16 v4, 1, v3
	v_and_b32_e32 v4, 0x7f, v4
	s_delay_alu instid0(VALU_DEP_1) | instskip(NEXT) | instid1(VALU_DEP_1)
	v_mul_lo_u16 v4, 0xb3, v4
	v_lshrrev_b16 v15, 12, v4
	s_delay_alu instid0(VALU_DEP_1) | instskip(NEXT) | instid1(VALU_DEP_1)
	v_mul_lo_u16 v4, v15, 46
	v_sub_nc_u16 v16, v3, v4
	s_delay_alu instid0(VALU_DEP_1) | instskip(NEXT) | instid1(VALU_DEP_1)
	v_or_b32_e32 v3, 0xffffff80, v16
	v_lshrrev_b16 v4, 1, v3
	s_delay_alu instid0(VALU_DEP_1) | instskip(NEXT) | instid1(VALU_DEP_1)
	v_and_b32_e32 v4, 0x7f, v4
	v_mul_lo_u16 v4, 0xb3, v4
	s_delay_alu instid0(VALU_DEP_1) | instskip(NEXT) | instid1(VALU_DEP_1)
	v_lshrrev_b16 v17, 12, v4
	v_mul_lo_u16 v4, v17, 46
	s_delay_alu instid0(VALU_DEP_1) | instskip(NEXT) | instid1(VALU_DEP_1)
	v_sub_nc_u16 v18, v3, v4
	v_or_b32_e32 v3, 0xffffff80, v18
	s_delay_alu instid0(VALU_DEP_1) | instskip(NEXT) | instid1(VALU_DEP_1)
	;; [unrolled: 21-line block ×3, first 2 shown]
	v_lshrrev_b16 v4, 1, v3
	v_and_b32_e32 v4, 0x7f, v4
	s_delay_alu instid0(VALU_DEP_1) | instskip(NEXT) | instid1(VALU_DEP_1)
	v_mul_lo_u16 v4, 0xb3, v4
	v_lshrrev_b16 v23, 12, v4
	s_delay_alu instid0(VALU_DEP_1) | instskip(NEXT) | instid1(VALU_DEP_1)
	v_mul_lo_u16 v4, v23, 46
	v_sub_nc_u16 v24, v3, v4
	v_mad_u64_u32 v[3:4], null, s6, v1, v[2:3]
	s_delay_alu instid0(VALU_DEP_2) | instskip(NEXT) | instid1(VALU_DEP_1)
	v_or_b32_e32 v25, 0xffffff80, v24
	v_lshrrev_b16 v9, 1, v25
	s_delay_alu instid0(VALU_DEP_1) | instskip(NEXT) | instid1(VALU_DEP_1)
	v_and_b32_e32 v4, 0x7f, v9
	v_mul_lo_u16 v9, 0xb3, v4
	v_ashrrev_i32_e32 v4, 31, v3
	s_delay_alu instid0(VALU_DEP_2) | instskip(NEXT) | instid1(VALU_DEP_2)
	v_lshrrev_b16 v28, 12, v9
	v_lshlrev_b64 v[7:8], 2, v[3:4]
	v_add_co_u32 v4, vcc_lo, s8, s10
	s_delay_alu instid0(VALU_DEP_3) | instskip(NEXT) | instid1(VALU_DEP_3)
	v_mul_lo_u16 v3, v28, 46
	v_mad_u64_u32 v[9:10], null, v27, s6, v[6:7]
	v_add_co_ci_u32_e32 v10, vcc_lo, s9, v26, vcc_lo
	s_delay_alu instid0(VALU_DEP_3) | instskip(SKIP_1) | instid1(VALU_DEP_3)
	v_sub_nc_u16 v25, v25, v3
	v_add_co_u32 v4, vcc_lo, v4, s18
	v_add_co_ci_u32_e32 v5, vcc_lo, v10, v5, vcc_lo
	s_delay_alu instid0(VALU_DEP_3) | instskip(SKIP_3) | instid1(VALU_DEP_4)
	v_or_b32_e32 v26, 0xffffff80, v25
	v_ashrrev_i32_e32 v10, 31, v9
	v_and_b32_e32 v3, 0xffff, v11
	v_add_co_u32 v7, vcc_lo, v4, v7
	v_lshrrev_b16 v11, 1, v26
	s_delay_alu instid0(VALU_DEP_4)
	v_lshlrev_b64 v[9:10], 2, v[9:10]
	v_add_co_ci_u32_e32 v8, vcc_lo, v5, v8, vcc_lo
	v_add_nc_u32_e32 v30, v27, v3
	v_and_b32_e32 v3, 0xff, v12
	v_and_b32_e32 v11, 0x7f, v11
	global_load_b32 v29, v[7:8], off
	v_add_co_u32 v7, vcc_lo, v4, v9
	v_add_co_ci_u32_e32 v8, vcc_lo, v5, v10, vcc_lo
	v_mad_u64_u32 v[9:10], null, v30, s6, v[3:4]
	v_mul_lo_u16 v10, 0xb3, v11
	global_load_b32 v31, v[7:8], off
	v_mad_u32_u24 v6, v27, 46, v6
	v_lshrrev_b16 v32, 12, v10
	v_ashrrev_i32_e32 v10, 31, v9
	s_delay_alu instid0(VALU_DEP_2) | instskip(NEXT) | instid1(VALU_DEP_2)
	v_mul_lo_u16 v11, v32, 46
	v_lshlrev_b64 v[7:8], 2, v[9:10]
	v_and_b32_e32 v32, 0xffff, v32
	s_delay_alu instid0(VALU_DEP_3) | instskip(SKIP_1) | instid1(VALU_DEP_4)
	v_sub_nc_u16 v33, v26, v11
	v_mad_u32_u24 v11, v1, 46, v2
	v_add_co_u32 v7, vcc_lo, v4, v7
	v_add_co_ci_u32_e32 v8, vcc_lo, v5, v8, vcc_lo
	s_delay_alu instid0(VALU_DEP_4) | instskip(NEXT) | instid1(VALU_DEP_4)
	v_or_b32_e32 v9, 0xffffff80, v33
	v_lshl_add_u32 v27, v11, 2, 0
	global_load_b32 v34, v[7:8], off
	v_lshrrev_b16 v7, 1, v9
	s_delay_alu instid0(VALU_DEP_1) | instskip(NEXT) | instid1(VALU_DEP_1)
	v_and_b32_e32 v7, 0x7f, v7
	v_mul_lo_u16 v7, 0xb3, v7
	s_delay_alu instid0(VALU_DEP_1) | instskip(NEXT) | instid1(VALU_DEP_1)
	v_lshrrev_b16 v35, 12, v7
	v_mul_lo_u16 v7, v35, 46
	s_delay_alu instid0(VALU_DEP_1) | instskip(NEXT) | instid1(VALU_DEP_1)
	v_sub_nc_u16 v36, v9, v7
	v_or_b32_e32 v7, 0xffffff80, v36
	s_delay_alu instid0(VALU_DEP_1) | instskip(NEXT) | instid1(VALU_DEP_1)
	v_lshrrev_b16 v8, 1, v7
	v_and_b32_e32 v8, 0x7f, v8
	s_delay_alu instid0(VALU_DEP_1) | instskip(NEXT) | instid1(VALU_DEP_1)
	v_mul_lo_u16 v8, 0xb3, v8
	v_lshrrev_b16 v37, 12, v8
	s_delay_alu instid0(VALU_DEP_1) | instskip(NEXT) | instid1(VALU_DEP_1)
	v_mul_lo_u16 v8, v37, 46
	v_sub_nc_u16 v38, v7, v8
	s_delay_alu instid0(VALU_DEP_1) | instskip(NEXT) | instid1(VALU_DEP_1)
	v_or_b32_e32 v7, 0xffffff80, v38
	v_lshrrev_b16 v8, 1, v7
	s_delay_alu instid0(VALU_DEP_1) | instskip(NEXT) | instid1(VALU_DEP_1)
	v_and_b32_e32 v8, 0x7f, v8
	v_mul_lo_u16 v8, 0xb3, v8
	s_delay_alu instid0(VALU_DEP_1) | instskip(NEXT) | instid1(VALU_DEP_1)
	v_lshrrev_b16 v39, 12, v8
	v_mul_lo_u16 v8, v39, 46
	s_delay_alu instid0(VALU_DEP_1) | instskip(NEXT) | instid1(VALU_DEP_1)
	v_sub_nc_u16 v40, v7, v8
	v_or_b32_e32 v7, 0xffffff80, v40
	s_delay_alu instid0(VALU_DEP_1) | instskip(NEXT) | instid1(VALU_DEP_1)
	v_lshrrev_b16 v8, 1, v7
	v_and_b32_e32 v8, 0x7f, v8
	s_delay_alu instid0(VALU_DEP_1) | instskip(NEXT) | instid1(VALU_DEP_1)
	v_mul_lo_u16 v8, 0xb3, v8
	v_lshrrev_b16 v41, 12, v8
	s_delay_alu instid0(VALU_DEP_1) | instskip(NEXT) | instid1(VALU_DEP_1)
	v_mul_lo_u16 v8, v41, 46
	v_sub_nc_u16 v42, v7, v8
	s_delay_alu instid0(VALU_DEP_1) | instskip(NEXT) | instid1(VALU_DEP_1)
	v_or_b32_e32 v8, 0xffffff80, v42
	v_lshrrev_b16 v7, 1, v8
	s_delay_alu instid0(VALU_DEP_1) | instskip(NEXT) | instid1(VALU_DEP_1)
	v_and_b32_e32 v7, 0x7f, v7
	v_mul_lo_u16 v7, 0xb3, v7
	s_delay_alu instid0(VALU_DEP_1) | instskip(SKIP_1) | instid1(VALU_DEP_2)
	v_lshrrev_b16 v43, 12, v7
	v_and_b32_e32 v7, 0xffff, v13
	v_mul_lo_u16 v9, v43, 46
	s_delay_alu instid0(VALU_DEP_2) | instskip(SKIP_1) | instid1(VALU_DEP_3)
	v_add_nc_u32_e32 v10, v30, v7
	v_and_b32_e32 v7, 0xff, v14
	v_sub_nc_u16 v44, v8, v9
	s_delay_alu instid0(VALU_DEP_2) | instskip(SKIP_1) | instid1(VALU_DEP_3)
	v_mad_u64_u32 v[1:2], null, v10, s6, v[7:8]
	v_mad_u32_u24 v2, v30, 46, v3
	v_or_b32_e32 v14, 0xffffff80, v44
	v_and_b32_e32 v3, 0xffff, v15
	v_lshl_add_u32 v30, v6, 2, 0
	v_mad_u32_u24 v6, v10, 46, v7
	v_lshl_add_u32 v45, v2, 2, 0
	v_lshrrev_b16 v8, 1, v14
	v_add_nc_u32_e32 v11, v10, v3
	v_and_b32_e32 v3, 0xff, v16
	v_ashrrev_i32_e32 v2, 31, v1
	v_and_b32_e32 v10, 0xffff, v17
	v_and_b32_e32 v7, 0x7f, v8
	s_delay_alu instid0(VALU_DEP_4) | instskip(NEXT) | instid1(VALU_DEP_4)
	v_mad_u64_u32 v[8:9], null, v11, s6, v[3:4]
	v_lshlrev_b64 v[1:2], 2, v[1:2]
	s_delay_alu instid0(VALU_DEP_3) | instskip(SKIP_1) | instid1(VALU_DEP_2)
	v_mul_lo_u16 v7, 0xb3, v7
	v_add_nc_u32_e32 v10, v11, v10
	v_lshrrev_b16 v46, 12, v7
	v_mad_u32_u24 v7, v11, 46, v3
	v_ashrrev_i32_e32 v9, 31, v8
	v_add_co_u32 v12, vcc_lo, v4, v1
	s_delay_alu instid0(VALU_DEP_4) | instskip(SKIP_3) | instid1(VALU_DEP_4)
	v_mul_lo_u16 v11, v46, 46
	v_and_b32_e32 v1, 0xffff, v19
	v_add_co_ci_u32_e32 v13, vcc_lo, v5, v2, vcc_lo
	v_lshlrev_b64 v[2:3], 2, v[8:9]
	v_sub_nc_u16 v47, v14, v11
	s_delay_alu instid0(VALU_DEP_4)
	v_add_nc_u32_e32 v8, v10, v1
	v_and_b32_e32 v1, 0xff, v20
	v_and_b32_e32 v9, 0xff, v18
	;; [unrolled: 1-line block ×3, first 2 shown]
	v_or_b32_e32 v26, 0xffffff80, v47
	v_add_co_u32 v18, vcc_lo, v4, v2
	v_mad_u64_u32 v[16:17], null, v8, s6, v[1:2]
	v_add_co_ci_u32_e32 v19, vcc_lo, v5, v3, vcc_lo
	v_and_b32_e32 v2, 0xffff, v21
	v_lshrrev_b16 v3, 1, v26
	v_mad_u64_u32 v[14:15], null, v10, s6, v[9:10]
	v_mad_u32_u24 v9, v10, 46, v9
	s_delay_alu instid0(VALU_DEP_4)
	v_add_nc_u32_e32 v10, v8, v2
	v_and_b32_e32 v2, 0xff, v22
	v_and_b32_e32 v3, 0x7f, v3
	v_ashrrev_i32_e32 v17, 31, v16
	v_lshl_add_u32 v9, v9, 2, 0
	v_ashrrev_i32_e32 v15, 31, v14
	v_add_nc_u32_e32 v11, v10, v11
	v_mad_u64_u32 v[20:21], null, v10, s6, v[2:3]
	v_mul_lo_u16 v3, 0xb3, v3
	s_delay_alu instid0(VALU_DEP_4) | instskip(SKIP_1) | instid1(VALU_DEP_3)
	v_lshlrev_b64 v[14:15], 2, v[14:15]
	v_lshlrev_b64 v[16:17], 2, v[16:17]
	v_lshrrev_b16 v48, 12, v3
	v_and_b32_e32 v3, 0xff, v24
	v_and_b32_e32 v24, 0xffff, v28
	v_ashrrev_i32_e32 v21, 31, v20
	v_add_co_u32 v14, vcc_lo, v4, v14
	v_mul_lo_u16 v22, v48, 46
	s_delay_alu instid0(VALU_DEP_4)
	v_add_nc_u32_e32 v68, v11, v24
	v_and_b32_e32 v24, 0xff, v25
	v_lshlrev_b64 v[20:21], 2, v[20:21]
	v_add_co_ci_u32_e32 v15, vcc_lo, v5, v15, vcc_lo
	v_sub_nc_u16 v49, v26, v22
	v_add_co_u32 v16, vcc_lo, v4, v16
	v_mad_u64_u32 v[25:26], null, v68, s6, v[24:25]
	s_delay_alu instid0(VALU_DEP_3) | instskip(SKIP_2) | instid1(VALU_DEP_3)
	v_or_b32_e32 v28, 0xffffff80, v49
	v_add_co_ci_u32_e32 v17, vcc_lo, v5, v17, vcc_lo
	v_add_co_u32 v20, vcc_lo, v4, v20
	v_lshrrev_b16 v50, 1, v28
	v_add_co_ci_u32_e32 v21, vcc_lo, v5, v21, vcc_lo
	s_clause 0x4
	global_load_b32 v69, v[12:13], off
	global_load_b32 v70, v[18:19], off
	global_load_b32 v71, v[14:15], off
	global_load_b32 v72, v[16:17], off
	global_load_b32 v73, v[20:21], off
	v_mad_u64_u32 v[22:23], null, v11, s6, v[3:4]
	v_and_b32_e32 v26, 0x7f, v50
	v_add_nc_u32_e32 v74, v68, v32
	v_and_b32_e32 v20, 0xffff, v35
	v_and_b32_e32 v14, 0xff, v33
	s_delay_alu instid0(VALU_DEP_4) | instskip(SKIP_3) | instid1(VALU_DEP_4)
	v_mul_lo_u16 v15, 0xb3, v26
	v_ashrrev_i32_e32 v23, 31, v22
	v_ashrrev_i32_e32 v26, 31, v25
	v_add_nc_u32_e32 v75, v74, v20
	v_lshrrev_b16 v50, 12, v15
	s_delay_alu instid0(VALU_DEP_4) | instskip(SKIP_2) | instid1(VALU_DEP_4)
	v_lshlrev_b64 v[12:13], 2, v[22:23]
	v_and_b32_e32 v23, 0xffff, v37
	v_lshlrev_b64 v[15:16], 2, v[25:26]
	v_mul_lo_u16 v19, v50, 46
	s_delay_alu instid0(VALU_DEP_3) | instskip(SKIP_1) | instid1(VALU_DEP_4)
	v_add_nc_u32_e32 v76, v75, v23
	v_and_b32_e32 v23, 0xffff, v39
	v_mad_u64_u32 v[17:18], null, v74, s6, v[14:15]
	s_delay_alu instid0(VALU_DEP_4) | instskip(SKIP_1) | instid1(VALU_DEP_4)
	v_sub_nc_u16 v51, v28, v19
	v_and_b32_e32 v19, 0xff, v36
	v_add_nc_u32_e32 v77, v76, v23
	v_add_co_u32 v12, vcc_lo, v4, v12
	s_delay_alu instid0(VALU_DEP_4) | instskip(NEXT) | instid1(VALU_DEP_4)
	v_or_b32_e32 v28, 0xffffff80, v51
	v_mad_u64_u32 v[20:21], null, v75, s6, v[19:20]
	s_waitcnt vmcnt(7)
	ds_store_b32 v27, v29
	v_and_b32_e32 v29, 0xffff, v41
	v_lshrrev_b16 v22, 1, v28
	v_and_b32_e32 v41, 0xffff, v50
	v_ashrrev_i32_e32 v18, 31, v17
	v_add_co_ci_u32_e32 v13, vcc_lo, v5, v13, vcc_lo
	s_delay_alu instid0(VALU_DEP_4)
	v_and_b32_e32 v22, 0x7f, v22
	v_add_nc_u32_e32 v78, v77, v29
	v_and_b32_e32 v29, 0xff, v42
	s_waitcnt vmcnt(6)
	ds_store_b32 v30, v31
	v_ashrrev_i32_e32 v21, 31, v20
	v_mul_lo_u16 v25, 0xb3, v22
	v_and_b32_e32 v22, 0xff, v38
	v_mad_u64_u32 v[30:31], null, v78, s6, v[29:30]
	v_and_b32_e32 v31, 0xffff, v43
	s_delay_alu instid0(VALU_DEP_4) | instskip(NEXT) | instid1(VALU_DEP_4)
	v_lshrrev_b16 v52, 12, v25
	v_mad_u64_u32 v[25:26], null, v76, s6, v[22:23]
	v_and_b32_e32 v23, 0xff, v40
	s_delay_alu instid0(VALU_DEP_4) | instskip(NEXT) | instid1(VALU_DEP_4)
	v_add_nc_u32_e32 v79, v78, v31
	v_mul_lo_u16 v26, v52, 46
	v_and_b32_e32 v43, 0xffff, v52
	v_lshlrev_b64 v[17:18], 2, v[17:18]
	v_add_co_u32 v15, vcc_lo, v4, v15
	s_delay_alu instid0(VALU_DEP_4)
	v_sub_nc_u16 v53, v28, v26
	v_mad_u64_u32 v[27:28], null, v77, s6, v[23:24]
	s_waitcnt vmcnt(5)
	ds_store_b32 v45, v34
	v_ashrrev_i32_e32 v26, 31, v25
	v_or_b32_e32 v38, 0xffffff80, v53
	v_lshlrev_b64 v[20:21], 2, v[20:21]
	v_add_co_ci_u32_e32 v16, vcc_lo, v5, v16, vcc_lo
	v_ashrrev_i32_e32 v28, 31, v27
	s_delay_alu instid0(VALU_DEP_4) | instskip(SKIP_3) | instid1(VALU_DEP_4)
	v_lshrrev_b16 v32, 1, v38
	v_add_co_u32 v17, vcc_lo, v4, v17
	v_lshlrev_b64 v[25:26], 2, v[25:26]
	v_ashrrev_i32_e32 v31, 31, v30
	v_and_b32_e32 v33, 0x7f, v32
	v_and_b32_e32 v32, 0xff, v44
	v_add_co_ci_u32_e32 v18, vcc_lo, v5, v18, vcc_lo
	v_add_co_u32 v20, vcc_lo, v4, v20
	s_delay_alu instid0(VALU_DEP_4) | instskip(NEXT) | instid1(VALU_DEP_4)
	v_mul_lo_u16 v35, 0xb3, v33
	v_mad_u64_u32 v[33:34], null, v79, s6, v[32:33]
	v_and_b32_e32 v34, 0xffff, v46
	v_lshlrev_b64 v[27:28], 2, v[27:28]
	s_delay_alu instid0(VALU_DEP_4) | instskip(SKIP_3) | instid1(VALU_DEP_4)
	v_lshrrev_b16 v54, 12, v35
	v_and_b32_e32 v35, 0xff, v47
	v_add_co_ci_u32_e32 v21, vcc_lo, v5, v21, vcc_lo
	v_add_nc_u32_e32 v80, v79, v34
	v_mul_lo_u16 v39, v54, 46
	v_ashrrev_i32_e32 v34, 31, v33
	v_add_co_u32 v25, vcc_lo, v4, v25
	s_delay_alu instid0(VALU_DEP_4)
	v_mad_u64_u32 v[36:37], null, v80, s6, v[35:36]
	v_and_b32_e32 v37, 0xffff, v48
	v_sub_nc_u16 v47, v38, v39
	v_and_b32_e32 v38, 0xff, v49
	v_lshlrev_b64 v[30:31], 2, v[30:31]
	v_add_co_ci_u32_e32 v26, vcc_lo, v5, v26, vcc_lo
	v_add_nc_u32_e32 v81, v80, v37
	v_or_b32_e32 v48, 0xffffff80, v47
	v_and_b32_e32 v47, 0xff, v47
	v_ashrrev_i32_e32 v37, 31, v36
	v_add_co_u32 v27, vcc_lo, v4, v27
	v_mad_u64_u32 v[39:40], null, v81, s6, v[38:39]
	v_lshrrev_b16 v40, 1, v48
	v_add_nc_u32_e32 v82, v81, v41
	v_lshlrev_b64 v[33:34], 2, v[33:34]
	v_add_co_ci_u32_e32 v28, vcc_lo, v5, v28, vcc_lo
	s_delay_alu instid0(VALU_DEP_4) | instskip(NEXT) | instid1(VALU_DEP_4)
	v_and_b32_e32 v42, 0x7f, v40
	v_add_nc_u32_e32 v83, v82, v43
	v_ashrrev_i32_e32 v40, 31, v39
	v_add_co_u32 v30, vcc_lo, v4, v30
	s_delay_alu instid0(VALU_DEP_4) | instskip(SKIP_3) | instid1(VALU_DEP_4)
	v_mul_lo_u16 v41, 0xb3, v42
	v_and_b32_e32 v42, 0xff, v53
	v_lshlrev_b64 v[36:37], 2, v[36:37]
	v_add_co_ci_u32_e32 v31, vcc_lo, v5, v31, vcc_lo
	v_lshrrev_b16 v49, 12, v41
	v_and_b32_e32 v41, 0xff, v51
	v_add_co_u32 v33, vcc_lo, v4, v33
	v_lshlrev_b64 v[39:40], 2, v[39:40]
	s_delay_alu instid0(VALU_DEP_4) | instskip(NEXT) | instid1(VALU_DEP_4)
	v_mul_lo_u16 v50, v49, 46
	v_mad_u64_u32 v[43:44], null, v82, s6, v[41:42]
	v_and_b32_e32 v51, 0xffff, v49
	v_add_co_ci_u32_e32 v34, vcc_lo, v5, v34, vcc_lo
	s_delay_alu instid0(VALU_DEP_4) | instskip(SKIP_2) | instid1(VALU_DEP_3)
	v_sub_nc_u16 v50, v48, v50
	v_add_co_u32 v36, vcc_lo, v4, v36
	v_mad_u64_u32 v[45:46], null, v83, s6, v[42:43]
	v_or_b32_e32 v53, 0xffffff80, v50
	v_and_b32_e32 v46, 0xffff, v54
	v_and_b32_e32 v50, 0xff, v50
	v_ashrrev_i32_e32 v44, 31, v43
	v_add_co_ci_u32_e32 v37, vcc_lo, v5, v37, vcc_lo
	v_lshrrev_b16 v52, 1, v53
	v_add_nc_u32_e32 v84, v83, v46
	v_ashrrev_i32_e32 v46, 31, v45
	v_lshlrev_b64 v[43:44], 2, v[43:44]
	v_add_co_u32 v39, vcc_lo, v4, v39
	v_and_b32_e32 v54, 0x7f, v52
	v_add_nc_u32_e32 v85, v84, v51
	v_mad_u64_u32 v[48:49], null, v84, s6, v[47:48]
	v_lshlrev_b64 v[45:46], 2, v[45:46]
	s_delay_alu instid0(VALU_DEP_4) | instskip(NEXT) | instid1(VALU_DEP_4)
	v_mul_lo_u16 v54, 0xb3, v54
	v_mad_u64_u32 v[51:52], null, v85, s6, v[50:51]
	v_add_co_ci_u32_e32 v40, vcc_lo, v5, v40, vcc_lo
	s_delay_alu instid0(VALU_DEP_3) | instskip(SKIP_3) | instid1(VALU_DEP_4)
	v_lshrrev_b16 v54, 12, v54
	v_ashrrev_i32_e32 v49, 31, v48
	v_add_co_u32 v43, vcc_lo, v4, v43
	v_ashrrev_i32_e32 v52, 31, v51
	v_mul_lo_u16 v55, v54, 46
	v_and_b32_e32 v54, 0xffff, v54
	v_lshlrev_b64 v[48:49], 2, v[48:49]
	v_add_co_ci_u32_e32 v44, vcc_lo, v5, v44, vcc_lo
	s_delay_alu instid0(VALU_DEP_4) | instskip(NEXT) | instid1(VALU_DEP_4)
	v_sub_nc_u16 v56, v53, v55
	v_add_nc_u32_e32 v86, v85, v54
	v_add_co_u32 v45, vcc_lo, v4, v45
	v_lshlrev_b64 v[51:52], 2, v[51:52]
	s_delay_alu instid0(VALU_DEP_4) | instskip(SKIP_3) | instid1(VALU_DEP_3)
	v_and_b32_e32 v53, 0xff, v56
	v_or_b32_e32 v56, 0xffffff80, v56
	v_add_co_ci_u32_e32 v46, vcc_lo, v5, v46, vcc_lo
	v_add_co_u32 v48, vcc_lo, v4, v48
	v_lshrrev_b16 v57, 1, v56
	v_mad_u64_u32 v[54:55], null, v86, s6, v[53:54]
	v_add_co_ci_u32_e32 v49, vcc_lo, v5, v49, vcc_lo
	s_delay_alu instid0(VALU_DEP_3) | instskip(SKIP_2) | instid1(VALU_DEP_3)
	v_and_b32_e32 v57, 0x7f, v57
	v_add_co_u32 v51, vcc_lo, v4, v51
	v_add_co_ci_u32_e32 v52, vcc_lo, v5, v52, vcc_lo
	v_mul_lo_u16 v57, 0xb3, v57
	v_ashrrev_i32_e32 v55, 31, v54
	s_delay_alu instid0(VALU_DEP_2) | instskip(NEXT) | instid1(VALU_DEP_2)
	v_lshrrev_b16 v57, 12, v57
	v_lshlrev_b64 v[54:55], 2, v[54:55]
	s_delay_alu instid0(VALU_DEP_2) | instskip(NEXT) | instid1(VALU_DEP_2)
	v_mul_lo_u16 v58, v57, 46
	v_add_co_u32 v54, vcc_lo, v4, v54
	s_delay_alu instid0(VALU_DEP_3) | instskip(NEXT) | instid1(VALU_DEP_3)
	v_add_co_ci_u32_e32 v55, vcc_lo, v5, v55, vcc_lo
	v_sub_nc_u16 v59, v56, v58
	v_and_b32_e32 v56, 0xffff, v57
	s_delay_alu instid0(VALU_DEP_1) | instskip(NEXT) | instid1(VALU_DEP_3)
	v_add_nc_u32_e32 v87, v86, v56
	v_and_b32_e32 v56, 0xff, v59
	v_or_b32_e32 v59, 0xffffff80, v59
	s_delay_alu instid0(VALU_DEP_2) | instskip(NEXT) | instid1(VALU_DEP_2)
	v_mad_u64_u32 v[57:58], null, v87, s6, v[56:57]
	v_lshrrev_b16 v60, 1, v59
	s_delay_alu instid0(VALU_DEP_1) | instskip(NEXT) | instid1(VALU_DEP_3)
	v_and_b32_e32 v60, 0x7f, v60
	v_ashrrev_i32_e32 v58, 31, v57
	s_delay_alu instid0(VALU_DEP_2) | instskip(NEXT) | instid1(VALU_DEP_2)
	v_mul_lo_u16 v60, 0xb3, v60
	v_lshlrev_b64 v[57:58], 2, v[57:58]
	s_delay_alu instid0(VALU_DEP_2) | instskip(NEXT) | instid1(VALU_DEP_2)
	v_lshrrev_b16 v60, 12, v60
	v_add_co_u32 v57, vcc_lo, v4, v57
	s_delay_alu instid0(VALU_DEP_3) | instskip(NEXT) | instid1(VALU_DEP_3)
	v_add_co_ci_u32_e32 v58, vcc_lo, v5, v58, vcc_lo
	v_mul_lo_u16 v61, v60, 46
	s_delay_alu instid0(VALU_DEP_1) | instskip(SKIP_1) | instid1(VALU_DEP_1)
	v_sub_nc_u16 v62, v59, v61
	v_and_b32_e32 v59, 0xffff, v60
	v_add_nc_u32_e32 v88, v87, v59
	s_delay_alu instid0(VALU_DEP_3) | instskip(SKIP_1) | instid1(VALU_DEP_2)
	v_and_b32_e32 v59, 0xff, v62
	v_or_b32_e32 v62, 0xffffff80, v62
	v_mad_u64_u32 v[60:61], null, v88, s6, v[59:60]
	s_delay_alu instid0(VALU_DEP_2) | instskip(NEXT) | instid1(VALU_DEP_1)
	v_lshrrev_b16 v63, 1, v62
	v_and_b32_e32 v63, 0x7f, v63
	s_delay_alu instid0(VALU_DEP_3) | instskip(NEXT) | instid1(VALU_DEP_2)
	v_ashrrev_i32_e32 v61, 31, v60
	v_mul_lo_u16 v63, 0xb3, v63
	s_delay_alu instid0(VALU_DEP_2) | instskip(NEXT) | instid1(VALU_DEP_2)
	v_lshlrev_b64 v[60:61], 2, v[60:61]
	v_lshrrev_b16 v63, 12, v63
	s_delay_alu instid0(VALU_DEP_2) | instskip(NEXT) | instid1(VALU_DEP_3)
	v_add_co_u32 v60, vcc_lo, v4, v60
	v_add_co_ci_u32_e32 v61, vcc_lo, v5, v61, vcc_lo
	s_delay_alu instid0(VALU_DEP_3) | instskip(NEXT) | instid1(VALU_DEP_1)
	v_mul_lo_u16 v64, v63, 46
	v_sub_nc_u16 v65, v62, v64
	v_and_b32_e32 v62, 0xffff, v63
	s_delay_alu instid0(VALU_DEP_1) | instskip(NEXT) | instid1(VALU_DEP_3)
	v_add_nc_u32_e32 v89, v88, v62
	v_and_b32_e32 v62, 0xff, v65
	v_or_b32_e32 v65, 0xffffff80, v65
	s_delay_alu instid0(VALU_DEP_2) | instskip(NEXT) | instid1(VALU_DEP_2)
	v_mad_u64_u32 v[63:64], null, v89, s6, v[62:63]
	v_lshrrev_b16 v66, 1, v65
	s_delay_alu instid0(VALU_DEP_1) | instskip(NEXT) | instid1(VALU_DEP_3)
	v_and_b32_e32 v66, 0x7f, v66
	v_ashrrev_i32_e32 v64, 31, v63
	s_delay_alu instid0(VALU_DEP_2) | instskip(NEXT) | instid1(VALU_DEP_2)
	v_mul_lo_u16 v66, 0xb3, v66
	v_lshlrev_b64 v[63:64], 2, v[63:64]
	s_delay_alu instid0(VALU_DEP_2) | instskip(NEXT) | instid1(VALU_DEP_2)
	v_lshrrev_b16 v66, 12, v66
	v_add_co_u32 v63, vcc_lo, v4, v63
	s_delay_alu instid0(VALU_DEP_3) | instskip(NEXT) | instid1(VALU_DEP_3)
	v_add_co_ci_u32_e32 v64, vcc_lo, v5, v64, vcc_lo
	v_mul_lo_u16 v67, v66, 46
	s_delay_alu instid0(VALU_DEP_1) | instskip(SKIP_1) | instid1(VALU_DEP_1)
	v_sub_nc_u16 v90, v65, v67
	v_and_b32_e32 v65, 0xffff, v66
	v_add_nc_u32_e32 v91, v89, v65
	s_delay_alu instid0(VALU_DEP_3) | instskip(NEXT) | instid1(VALU_DEP_1)
	v_and_b32_e32 v65, 0xff, v90
	v_mad_u64_u32 v[66:67], null, v91, s6, v[65:66]
	s_delay_alu instid0(VALU_DEP_1) | instskip(NEXT) | instid1(VALU_DEP_1)
	v_ashrrev_i32_e32 v67, 31, v66
	v_lshlrev_b64 v[66:67], 2, v[66:67]
	s_delay_alu instid0(VALU_DEP_1) | instskip(NEXT) | instid1(VALU_DEP_2)
	v_add_co_u32 v66, vcc_lo, v4, v66
	v_add_co_ci_u32_e32 v67, vcc_lo, v5, v67, vcc_lo
	s_clause 0x12
	global_load_b32 v92, v[12:13], off
	global_load_b32 v93, v[15:16], off
	;; [unrolled: 1-line block ×19, first 2 shown]
	v_mad_u64_u32 v[15:16], null, v10, 46, v[2:3]
	v_mad_u64_u32 v[12:13], null, v8, 46, v[1:2]
	;; [unrolled: 1-line block ×3, first 2 shown]
	v_lshl_add_u32 v8, v6, 2, 0
	v_lshl_add_u32 v10, v7, 2, 0
	v_mad_u64_u32 v[6:7], null, v74, 46, v[14:15]
	v_lshl_add_u32 v12, v12, 2, 0
	v_lshl_add_u32 v13, v15, 2, 0
	s_waitcnt vmcnt(23)
	ds_store_b32 v8, v69
	s_waitcnt vmcnt(22)
	ds_store_b32 v10, v70
	;; [unrolled: 2-line block ×5, first 2 shown]
	v_lshl_add_u32 v8, v1, 2, 0
	v_lshl_add_u32 v10, v6, 2, 0
	v_mad_u64_u32 v[6:7], null, v77, 46, v[23:24]
	s_delay_alu instid0(VALU_DEP_1)
	v_lshl_add_u32 v6, v6, 2, 0
	s_waitcnt vmcnt(18)
	ds_store_b32 v8, v92
	s_waitcnt vmcnt(12)
	v_mad_u64_u32 v[2:3], null, v68, 46, v[24:25]
	s_waitcnt vmcnt(8)
	v_mad_u64_u32 v[7:8], null, v78, 46, v[29:30]
	s_delay_alu instid0(VALU_DEP_2)
	v_lshl_add_u32 v9, v2, 2, 0
	v_mad_u64_u32 v[1:2], null, v75, 46, v[19:20]
	v_mad_u64_u32 v[2:3], null, v76, 46, v[22:23]
	ds_store_b32 v9, v93
	ds_store_b32 v10, v17
	v_lshl_add_u32 v7, v7, 2, 0
	v_or_b32_e32 v10, 0xffffff80, v90
	v_lshl_add_u32 v8, v1, 2, 0
	v_lshl_add_u32 v9, v2, 2, 0
	s_waitcnt vmcnt(6)
	v_mad_u64_u32 v[1:2], null, v79, 46, v[32:33]
	s_waitcnt vmcnt(4)
	v_mad_u64_u32 v[2:3], null, v80, 46, v[35:36]
	ds_store_b32 v8, v18
	ds_store_b32 v9, v20
	;; [unrolled: 1-line block ×4, first 2 shown]
	s_waitcnt vmcnt(2)
	v_mad_u64_u32 v[6:7], null, v81, 46, v[38:39]
	v_lshrrev_b16 v11, 1, v10
	v_lshl_add_u32 v8, v1, 2, 0
	v_lshl_add_u32 v7, v2, 2, 0
	v_mad_u64_u32 v[1:2], null, v82, 46, v[41:42]
	s_waitcnt vmcnt(0)
	v_mad_u64_u32 v[2:3], null, v83, 46, v[42:43]
	ds_store_b32 v8, v26
	ds_store_b32 v7, v27
	v_lshl_add_u32 v8, v6, 2, 0
	v_mad_u64_u32 v[6:7], null, v84, 46, v[47:48]
	v_lshl_add_u32 v7, v1, 2, 0
	ds_store_b32 v8, v28
	ds_store_b32 v7, v30
	v_lshl_add_u32 v9, v2, 2, 0
	v_mad_u64_u32 v[1:2], null, v85, 46, v[50:51]
	v_mad_u64_u32 v[2:3], null, v86, 46, v[53:54]
	v_lshl_add_u32 v3, v6, 2, 0
	v_and_b32_e32 v6, 0x7f, v11
	ds_store_b32 v9, v31
	ds_store_b32 v3, v33
	v_lshl_add_u32 v3, v1, 2, 0
	v_mul_lo_u16 v8, 0xb3, v6
	v_lshl_add_u32 v11, v2, 2, 0
	v_mad_u64_u32 v[1:2], null, v87, 46, v[56:57]
	v_mad_u64_u32 v[6:7], null, v88, 46, v[59:60]
	s_delay_alu instid0(VALU_DEP_4) | instskip(SKIP_2) | instid1(VALU_DEP_3)
	v_lshrrev_b16 v2, 12, v8
	v_mad_u64_u32 v[7:8], null, v89, 46, v[62:63]
	v_mad_u64_u32 v[8:9], null, v91, 46, v[65:66]
	v_mul_lo_u16 v9, v2, 46
	v_and_b32_e32 v2, 0xffff, v2
	ds_store_b32 v3, v34
	ds_store_b32 v11, v36
	v_lshl_add_u32 v3, v1, 2, 0
	v_lshl_add_u32 v6, v6, 2, 0
	v_sub_nc_u16 v1, v10, v9
	v_add_nc_u32_e32 v2, v91, v2
	v_lshl_add_u32 v7, v7, 2, 0
	v_lshl_add_u32 v8, v8, 2, 0
	ds_store_b32 v3, v37
	ds_store_b32 v6, v39
	;; [unrolled: 1-line block ×4, first 2 shown]
	v_and_b32_e32 v1, 0xff, v1
	v_cmpx_gt_u32_e32 0x80, v2
	s_cbranch_execz .LBB19_2
; %bb.1:
	s_delay_alu instid0(VALU_DEP_2) | instskip(NEXT) | instid1(VALU_DEP_1)
	v_mad_u64_u32 v[6:7], null, v2, s6, v[1:2]
	v_ashrrev_i32_e32 v7, 31, v6
	s_delay_alu instid0(VALU_DEP_1) | instskip(NEXT) | instid1(VALU_DEP_1)
	v_lshlrev_b64 v[6:7], 2, v[6:7]
	v_add_co_u32 v6, vcc_lo, v4, v6
	s_delay_alu instid0(VALU_DEP_2) | instskip(SKIP_2) | instid1(VALU_DEP_1)
	v_add_co_ci_u32_e32 v7, vcc_lo, v5, v7, vcc_lo
	global_load_b32 v3, v[6:7], off
	v_mad_u64_u32 v[6:7], null, v2, 46, v[1:2]
	v_lshl_add_u32 v6, v6, 2, 0
	s_waitcnt vmcnt(0)
	ds_store_b32 v6, v3
.LBB19_2:
	s_or_b32 exec_lo, exec_lo, s2
	s_delay_alu instid0(VALU_DEP_2) | instskip(SKIP_1) | instid1(VALU_DEP_1)
	v_or_b32_e32 v1, 0xffffff80, v1
	s_mov_b32 s2, exec_lo
	v_lshrrev_b16 v3, 1, v1
	s_delay_alu instid0(VALU_DEP_1) | instskip(NEXT) | instid1(VALU_DEP_1)
	v_and_b32_e32 v3, 0x7f, v3
	v_mul_lo_u16 v3, 0xb3, v3
	s_delay_alu instid0(VALU_DEP_1) | instskip(NEXT) | instid1(VALU_DEP_1)
	v_lshrrev_b16 v3, 12, v3
	v_mul_lo_u16 v6, v3, 46
	v_and_b32_e32 v3, 0xffff, v3
	s_delay_alu instid0(VALU_DEP_2) | instskip(NEXT) | instid1(VALU_DEP_2)
	v_sub_nc_u16 v1, v1, v6
	v_add_nc_u32_e32 v2, v2, v3
	s_delay_alu instid0(VALU_DEP_2) | instskip(NEXT) | instid1(VALU_DEP_2)
	v_and_b32_e32 v1, 0xff, v1
	v_cmpx_gt_u32_e32 0x80, v2
	s_cbranch_execz .LBB19_4
; %bb.3:
	s_delay_alu instid0(VALU_DEP_2) | instskip(NEXT) | instid1(VALU_DEP_1)
	v_mad_u64_u32 v[6:7], null, v2, s6, v[1:2]
	v_ashrrev_i32_e32 v7, 31, v6
	s_delay_alu instid0(VALU_DEP_1) | instskip(NEXT) | instid1(VALU_DEP_1)
	v_lshlrev_b64 v[6:7], 2, v[6:7]
	v_add_co_u32 v6, vcc_lo, v4, v6
	s_delay_alu instid0(VALU_DEP_2) | instskip(SKIP_2) | instid1(VALU_DEP_1)
	v_add_co_ci_u32_e32 v7, vcc_lo, v5, v7, vcc_lo
	global_load_b32 v3, v[6:7], off
	v_mad_u64_u32 v[6:7], null, v2, 46, v[1:2]
	v_lshl_add_u32 v6, v6, 2, 0
	s_waitcnt vmcnt(0)
	ds_store_b32 v6, v3
.LBB19_4:
	s_or_b32 exec_lo, exec_lo, s2
	s_delay_alu instid0(VALU_DEP_2) | instskip(SKIP_1) | instid1(VALU_DEP_1)
	v_or_b32_e32 v1, 0xffffff80, v1
	s_mov_b32 s2, exec_lo
	v_lshrrev_b16 v3, 1, v1
	s_delay_alu instid0(VALU_DEP_1) | instskip(NEXT) | instid1(VALU_DEP_1)
	v_and_b32_e32 v3, 0x7f, v3
	v_mul_lo_u16 v3, 0xb3, v3
	s_delay_alu instid0(VALU_DEP_1) | instskip(NEXT) | instid1(VALU_DEP_1)
	v_lshrrev_b16 v3, 12, v3
	v_mul_lo_u16 v6, v3, 46
	v_and_b32_e32 v3, 0xffff, v3
	s_delay_alu instid0(VALU_DEP_2) | instskip(NEXT) | instid1(VALU_DEP_2)
	v_sub_nc_u16 v1, v1, v6
	v_add_nc_u32_e32 v2, v2, v3
	s_delay_alu instid0(VALU_DEP_2) | instskip(NEXT) | instid1(VALU_DEP_2)
	v_and_b32_e32 v1, 0xff, v1
	v_cmpx_gt_u32_e32 0x80, v2
	s_cbranch_execz .LBB19_6
; %bb.5:
	s_delay_alu instid0(VALU_DEP_2) | instskip(NEXT) | instid1(VALU_DEP_1)
	v_mad_u64_u32 v[6:7], null, v2, s6, v[1:2]
	v_ashrrev_i32_e32 v7, 31, v6
	s_delay_alu instid0(VALU_DEP_1) | instskip(NEXT) | instid1(VALU_DEP_1)
	v_lshlrev_b64 v[6:7], 2, v[6:7]
	v_add_co_u32 v6, vcc_lo, v4, v6
	s_delay_alu instid0(VALU_DEP_2) | instskip(SKIP_2) | instid1(VALU_DEP_1)
	v_add_co_ci_u32_e32 v7, vcc_lo, v5, v7, vcc_lo
	global_load_b32 v3, v[6:7], off
	v_mad_u64_u32 v[6:7], null, v2, 46, v[1:2]
	v_lshl_add_u32 v6, v6, 2, 0
	s_waitcnt vmcnt(0)
	ds_store_b32 v6, v3
.LBB19_6:
	s_or_b32 exec_lo, exec_lo, s2
	s_delay_alu instid0(VALU_DEP_2) | instskip(SKIP_1) | instid1(VALU_DEP_1)
	v_or_b32_e32 v1, 0xffffff80, v1
	s_mov_b32 s2, exec_lo
	v_lshrrev_b16 v3, 1, v1
	s_delay_alu instid0(VALU_DEP_1) | instskip(NEXT) | instid1(VALU_DEP_1)
	v_and_b32_e32 v3, 0x7f, v3
	v_mul_lo_u16 v3, 0xb3, v3
	s_delay_alu instid0(VALU_DEP_1) | instskip(NEXT) | instid1(VALU_DEP_1)
	v_lshrrev_b16 v3, 12, v3
	v_mul_lo_u16 v6, v3, 46
	v_and_b32_e32 v3, 0xffff, v3
	s_delay_alu instid0(VALU_DEP_2) | instskip(NEXT) | instid1(VALU_DEP_2)
	v_sub_nc_u16 v1, v1, v6
	v_add_nc_u32_e32 v2, v2, v3
	s_delay_alu instid0(VALU_DEP_2) | instskip(NEXT) | instid1(VALU_DEP_2)
	v_and_b32_e32 v1, 0xff, v1
	v_cmpx_gt_u32_e32 0x80, v2
	s_cbranch_execz .LBB19_8
; %bb.7:
	s_delay_alu instid0(VALU_DEP_2) | instskip(NEXT) | instid1(VALU_DEP_1)
	v_mad_u64_u32 v[6:7], null, v2, s6, v[1:2]
	v_ashrrev_i32_e32 v7, 31, v6
	s_delay_alu instid0(VALU_DEP_1) | instskip(NEXT) | instid1(VALU_DEP_1)
	v_lshlrev_b64 v[6:7], 2, v[6:7]
	v_add_co_u32 v6, vcc_lo, v4, v6
	s_delay_alu instid0(VALU_DEP_2) | instskip(SKIP_2) | instid1(VALU_DEP_1)
	v_add_co_ci_u32_e32 v7, vcc_lo, v5, v7, vcc_lo
	global_load_b32 v3, v[6:7], off
	v_mad_u64_u32 v[6:7], null, v2, 46, v[1:2]
	v_lshl_add_u32 v6, v6, 2, 0
	s_waitcnt vmcnt(0)
	ds_store_b32 v6, v3
.LBB19_8:
	s_or_b32 exec_lo, exec_lo, s2
	s_delay_alu instid0(VALU_DEP_2) | instskip(SKIP_1) | instid1(VALU_DEP_1)
	v_or_b32_e32 v1, 0xffffff80, v1
	s_mov_b32 s2, exec_lo
	v_lshrrev_b16 v3, 1, v1
	s_delay_alu instid0(VALU_DEP_1) | instskip(NEXT) | instid1(VALU_DEP_1)
	v_and_b32_e32 v3, 0x7f, v3
	v_mul_lo_u16 v3, 0xb3, v3
	s_delay_alu instid0(VALU_DEP_1) | instskip(NEXT) | instid1(VALU_DEP_1)
	v_lshrrev_b16 v3, 12, v3
	v_mul_lo_u16 v6, v3, 46
	v_and_b32_e32 v3, 0xffff, v3
	s_delay_alu instid0(VALU_DEP_2) | instskip(NEXT) | instid1(VALU_DEP_2)
	v_sub_nc_u16 v1, v1, v6
	v_add_nc_u32_e32 v2, v2, v3
	s_delay_alu instid0(VALU_DEP_2) | instskip(NEXT) | instid1(VALU_DEP_2)
	v_and_b32_e32 v1, 0xff, v1
	v_cmpx_gt_u32_e32 0x80, v2
	s_cbranch_execz .LBB19_10
; %bb.9:
	s_delay_alu instid0(VALU_DEP_2) | instskip(NEXT) | instid1(VALU_DEP_1)
	v_mad_u64_u32 v[6:7], null, v2, s6, v[1:2]
	v_ashrrev_i32_e32 v7, 31, v6
	s_delay_alu instid0(VALU_DEP_1) | instskip(NEXT) | instid1(VALU_DEP_1)
	v_lshlrev_b64 v[6:7], 2, v[6:7]
	v_add_co_u32 v6, vcc_lo, v4, v6
	s_delay_alu instid0(VALU_DEP_2) | instskip(SKIP_2) | instid1(VALU_DEP_1)
	v_add_co_ci_u32_e32 v7, vcc_lo, v5, v7, vcc_lo
	global_load_b32 v3, v[6:7], off
	v_mad_u64_u32 v[6:7], null, v2, 46, v[1:2]
	v_lshl_add_u32 v6, v6, 2, 0
	s_waitcnt vmcnt(0)
	ds_store_b32 v6, v3
.LBB19_10:
	s_or_b32 exec_lo, exec_lo, s2
	s_delay_alu instid0(VALU_DEP_2) | instskip(SKIP_1) | instid1(VALU_DEP_1)
	v_or_b32_e32 v1, 0xffffff80, v1
	s_mov_b32 s2, exec_lo
	v_lshrrev_b16 v3, 1, v1
	s_delay_alu instid0(VALU_DEP_1) | instskip(NEXT) | instid1(VALU_DEP_1)
	v_and_b32_e32 v3, 0x7f, v3
	v_mul_lo_u16 v3, 0xb3, v3
	s_delay_alu instid0(VALU_DEP_1) | instskip(NEXT) | instid1(VALU_DEP_1)
	v_lshrrev_b16 v3, 12, v3
	v_mul_lo_u16 v6, v3, 46
	v_and_b32_e32 v3, 0xffff, v3
	s_delay_alu instid0(VALU_DEP_2) | instskip(NEXT) | instid1(VALU_DEP_2)
	v_sub_nc_u16 v1, v1, v6
	v_add_nc_u32_e32 v2, v2, v3
	s_delay_alu instid0(VALU_DEP_2) | instskip(NEXT) | instid1(VALU_DEP_2)
	v_and_b32_e32 v1, 0xff, v1
	v_cmpx_gt_u32_e32 0x80, v2
	s_cbranch_execz .LBB19_12
; %bb.11:
	s_delay_alu instid0(VALU_DEP_2) | instskip(NEXT) | instid1(VALU_DEP_1)
	v_mad_u64_u32 v[6:7], null, v2, s6, v[1:2]
	v_ashrrev_i32_e32 v7, 31, v6
	s_delay_alu instid0(VALU_DEP_1) | instskip(NEXT) | instid1(VALU_DEP_1)
	v_lshlrev_b64 v[6:7], 2, v[6:7]
	v_add_co_u32 v6, vcc_lo, v4, v6
	s_delay_alu instid0(VALU_DEP_2) | instskip(SKIP_2) | instid1(VALU_DEP_1)
	v_add_co_ci_u32_e32 v7, vcc_lo, v5, v7, vcc_lo
	global_load_b32 v3, v[6:7], off
	v_mad_u64_u32 v[6:7], null, v2, 46, v[1:2]
	v_lshl_add_u32 v6, v6, 2, 0
	s_waitcnt vmcnt(0)
	ds_store_b32 v6, v3
.LBB19_12:
	s_or_b32 exec_lo, exec_lo, s2
	s_delay_alu instid0(VALU_DEP_2) | instskip(SKIP_1) | instid1(VALU_DEP_1)
	v_or_b32_e32 v1, 0xffffff80, v1
	s_mov_b32 s2, exec_lo
	v_lshrrev_b16 v3, 1, v1
	s_delay_alu instid0(VALU_DEP_1) | instskip(NEXT) | instid1(VALU_DEP_1)
	v_and_b32_e32 v3, 0x7f, v3
	v_mul_lo_u16 v3, 0xb3, v3
	s_delay_alu instid0(VALU_DEP_1) | instskip(NEXT) | instid1(VALU_DEP_1)
	v_lshrrev_b16 v3, 12, v3
	v_mul_lo_u16 v6, v3, 46
	v_and_b32_e32 v3, 0xffff, v3
	s_delay_alu instid0(VALU_DEP_2) | instskip(NEXT) | instid1(VALU_DEP_2)
	v_sub_nc_u16 v1, v1, v6
	v_add_nc_u32_e32 v2, v2, v3
	s_delay_alu instid0(VALU_DEP_2) | instskip(NEXT) | instid1(VALU_DEP_2)
	v_and_b32_e32 v1, 0xff, v1
	v_cmpx_gt_u32_e32 0x80, v2
	s_cbranch_execz .LBB19_14
; %bb.13:
	s_delay_alu instid0(VALU_DEP_2) | instskip(NEXT) | instid1(VALU_DEP_1)
	v_mad_u64_u32 v[6:7], null, v2, s6, v[1:2]
	v_ashrrev_i32_e32 v7, 31, v6
	s_delay_alu instid0(VALU_DEP_1) | instskip(NEXT) | instid1(VALU_DEP_1)
	v_lshlrev_b64 v[6:7], 2, v[6:7]
	v_add_co_u32 v6, vcc_lo, v4, v6
	s_delay_alu instid0(VALU_DEP_2) | instskip(SKIP_2) | instid1(VALU_DEP_1)
	v_add_co_ci_u32_e32 v7, vcc_lo, v5, v7, vcc_lo
	global_load_b32 v3, v[6:7], off
	v_mad_u64_u32 v[6:7], null, v2, 46, v[1:2]
	v_lshl_add_u32 v6, v6, 2, 0
	s_waitcnt vmcnt(0)
	ds_store_b32 v6, v3
.LBB19_14:
	s_or_b32 exec_lo, exec_lo, s2
	s_delay_alu instid0(VALU_DEP_2) | instskip(SKIP_1) | instid1(VALU_DEP_1)
	v_or_b32_e32 v1, 0xffffff80, v1
	s_mov_b32 s2, exec_lo
	v_lshrrev_b16 v3, 1, v1
	s_delay_alu instid0(VALU_DEP_1) | instskip(NEXT) | instid1(VALU_DEP_1)
	v_and_b32_e32 v3, 0x7f, v3
	v_mul_lo_u16 v3, 0xb3, v3
	s_delay_alu instid0(VALU_DEP_1) | instskip(NEXT) | instid1(VALU_DEP_1)
	v_lshrrev_b16 v3, 12, v3
	v_mul_lo_u16 v6, v3, 46
	v_and_b32_e32 v3, 0xffff, v3
	s_delay_alu instid0(VALU_DEP_2) | instskip(NEXT) | instid1(VALU_DEP_2)
	v_sub_nc_u16 v1, v1, v6
	v_add_nc_u32_e32 v2, v2, v3
	s_delay_alu instid0(VALU_DEP_2) | instskip(NEXT) | instid1(VALU_DEP_2)
	v_and_b32_e32 v1, 0xff, v1
	v_cmpx_gt_u32_e32 0x80, v2
	s_cbranch_execz .LBB19_16
; %bb.15:
	s_delay_alu instid0(VALU_DEP_2) | instskip(NEXT) | instid1(VALU_DEP_1)
	v_mad_u64_u32 v[6:7], null, v2, s6, v[1:2]
	v_ashrrev_i32_e32 v7, 31, v6
	s_delay_alu instid0(VALU_DEP_1) | instskip(NEXT) | instid1(VALU_DEP_1)
	v_lshlrev_b64 v[6:7], 2, v[6:7]
	v_add_co_u32 v6, vcc_lo, v4, v6
	s_delay_alu instid0(VALU_DEP_2) | instskip(SKIP_2) | instid1(VALU_DEP_1)
	v_add_co_ci_u32_e32 v7, vcc_lo, v5, v7, vcc_lo
	global_load_b32 v3, v[6:7], off
	v_mad_u64_u32 v[6:7], null, v2, 46, v[1:2]
	v_lshl_add_u32 v6, v6, 2, 0
	s_waitcnt vmcnt(0)
	ds_store_b32 v6, v3
.LBB19_16:
	s_or_b32 exec_lo, exec_lo, s2
	s_delay_alu instid0(VALU_DEP_2) | instskip(SKIP_1) | instid1(VALU_DEP_1)
	v_or_b32_e32 v1, 0xffffff80, v1
	s_mov_b32 s2, exec_lo
	v_lshrrev_b16 v3, 1, v1
	s_delay_alu instid0(VALU_DEP_1) | instskip(NEXT) | instid1(VALU_DEP_1)
	v_and_b32_e32 v3, 0x7f, v3
	v_mul_lo_u16 v3, 0xb3, v3
	s_delay_alu instid0(VALU_DEP_1) | instskip(NEXT) | instid1(VALU_DEP_1)
	v_lshrrev_b16 v3, 12, v3
	v_mul_lo_u16 v6, v3, 46
	v_and_b32_e32 v3, 0xffff, v3
	s_delay_alu instid0(VALU_DEP_2) | instskip(NEXT) | instid1(VALU_DEP_2)
	v_sub_nc_u16 v1, v1, v6
	v_add_nc_u32_e32 v2, v2, v3
	s_delay_alu instid0(VALU_DEP_2) | instskip(NEXT) | instid1(VALU_DEP_2)
	v_and_b32_e32 v1, 0xff, v1
	v_cmpx_gt_u32_e32 0x80, v2
	s_cbranch_execz .LBB19_18
; %bb.17:
	s_delay_alu instid0(VALU_DEP_2) | instskip(NEXT) | instid1(VALU_DEP_1)
	v_mad_u64_u32 v[6:7], null, v2, s6, v[1:2]
	v_ashrrev_i32_e32 v7, 31, v6
	s_delay_alu instid0(VALU_DEP_1) | instskip(NEXT) | instid1(VALU_DEP_1)
	v_lshlrev_b64 v[6:7], 2, v[6:7]
	v_add_co_u32 v6, vcc_lo, v4, v6
	s_delay_alu instid0(VALU_DEP_2) | instskip(SKIP_2) | instid1(VALU_DEP_1)
	v_add_co_ci_u32_e32 v7, vcc_lo, v5, v7, vcc_lo
	global_load_b32 v3, v[6:7], off
	v_mad_u64_u32 v[6:7], null, v2, 46, v[1:2]
	v_lshl_add_u32 v6, v6, 2, 0
	s_waitcnt vmcnt(0)
	ds_store_b32 v6, v3
.LBB19_18:
	s_or_b32 exec_lo, exec_lo, s2
	s_delay_alu instid0(VALU_DEP_2) | instskip(SKIP_1) | instid1(VALU_DEP_1)
	v_or_b32_e32 v1, 0xffffff80, v1
	s_mov_b32 s2, exec_lo
	v_lshrrev_b16 v3, 1, v1
	s_delay_alu instid0(VALU_DEP_1) | instskip(NEXT) | instid1(VALU_DEP_1)
	v_and_b32_e32 v3, 0x7f, v3
	v_mul_lo_u16 v3, 0xb3, v3
	s_delay_alu instid0(VALU_DEP_1) | instskip(NEXT) | instid1(VALU_DEP_1)
	v_lshrrev_b16 v3, 12, v3
	v_mul_lo_u16 v6, v3, 46
	v_and_b32_e32 v3, 0xffff, v3
	s_delay_alu instid0(VALU_DEP_2) | instskip(NEXT) | instid1(VALU_DEP_2)
	v_sub_nc_u16 v1, v1, v6
	v_add_nc_u32_e32 v2, v2, v3
	s_delay_alu instid0(VALU_DEP_2) | instskip(NEXT) | instid1(VALU_DEP_2)
	v_and_b32_e32 v1, 0xff, v1
	v_cmpx_gt_u32_e32 0x80, v2
	s_cbranch_execz .LBB19_20
; %bb.19:
	s_delay_alu instid0(VALU_DEP_2) | instskip(NEXT) | instid1(VALU_DEP_1)
	v_mad_u64_u32 v[6:7], null, v2, s6, v[1:2]
	v_ashrrev_i32_e32 v7, 31, v6
	s_delay_alu instid0(VALU_DEP_1) | instskip(NEXT) | instid1(VALU_DEP_1)
	v_lshlrev_b64 v[6:7], 2, v[6:7]
	v_add_co_u32 v6, vcc_lo, v4, v6
	s_delay_alu instid0(VALU_DEP_2) | instskip(SKIP_2) | instid1(VALU_DEP_1)
	v_add_co_ci_u32_e32 v7, vcc_lo, v5, v7, vcc_lo
	global_load_b32 v3, v[6:7], off
	v_mad_u64_u32 v[6:7], null, v2, 46, v[1:2]
	v_lshl_add_u32 v6, v6, 2, 0
	s_waitcnt vmcnt(0)
	ds_store_b32 v6, v3
.LBB19_20:
	s_or_b32 exec_lo, exec_lo, s2
	s_delay_alu instid0(VALU_DEP_2) | instskip(SKIP_1) | instid1(VALU_DEP_1)
	v_or_b32_e32 v1, 0xffffff80, v1
	s_mov_b32 s2, exec_lo
	v_lshrrev_b16 v3, 1, v1
	s_delay_alu instid0(VALU_DEP_1) | instskip(NEXT) | instid1(VALU_DEP_1)
	v_and_b32_e32 v3, 0x7f, v3
	v_mul_lo_u16 v3, 0xb3, v3
	s_delay_alu instid0(VALU_DEP_1) | instskip(NEXT) | instid1(VALU_DEP_1)
	v_lshrrev_b16 v3, 12, v3
	v_mul_lo_u16 v6, v3, 46
	v_and_b32_e32 v3, 0xffff, v3
	s_delay_alu instid0(VALU_DEP_2) | instskip(NEXT) | instid1(VALU_DEP_2)
	v_sub_nc_u16 v1, v1, v6
	v_add_nc_u32_e32 v2, v2, v3
	s_delay_alu instid0(VALU_DEP_2) | instskip(NEXT) | instid1(VALU_DEP_2)
	v_and_b32_e32 v1, 0xff, v1
	v_cmpx_gt_u32_e32 0x80, v2
	s_cbranch_execz .LBB19_22
; %bb.21:
	s_delay_alu instid0(VALU_DEP_2) | instskip(NEXT) | instid1(VALU_DEP_1)
	v_mad_u64_u32 v[6:7], null, v2, s6, v[1:2]
	v_ashrrev_i32_e32 v7, 31, v6
	s_delay_alu instid0(VALU_DEP_1) | instskip(NEXT) | instid1(VALU_DEP_1)
	v_lshlrev_b64 v[6:7], 2, v[6:7]
	v_add_co_u32 v6, vcc_lo, v4, v6
	s_delay_alu instid0(VALU_DEP_2) | instskip(SKIP_2) | instid1(VALU_DEP_1)
	v_add_co_ci_u32_e32 v7, vcc_lo, v5, v7, vcc_lo
	global_load_b32 v3, v[6:7], off
	v_mad_u64_u32 v[6:7], null, v2, 46, v[1:2]
	v_lshl_add_u32 v6, v6, 2, 0
	s_waitcnt vmcnt(0)
	ds_store_b32 v6, v3
.LBB19_22:
	s_or_b32 exec_lo, exec_lo, s2
	s_delay_alu instid0(VALU_DEP_2) | instskip(SKIP_1) | instid1(VALU_DEP_1)
	v_or_b32_e32 v1, 0xffffff80, v1
	s_mov_b32 s2, exec_lo
	v_lshrrev_b16 v3, 1, v1
	s_delay_alu instid0(VALU_DEP_1) | instskip(NEXT) | instid1(VALU_DEP_1)
	v_and_b32_e32 v3, 0x7f, v3
	v_mul_lo_u16 v3, 0xb3, v3
	s_delay_alu instid0(VALU_DEP_1) | instskip(NEXT) | instid1(VALU_DEP_1)
	v_lshrrev_b16 v3, 12, v3
	v_mul_lo_u16 v6, v3, 46
	v_and_b32_e32 v3, 0xffff, v3
	s_delay_alu instid0(VALU_DEP_2) | instskip(NEXT) | instid1(VALU_DEP_2)
	v_sub_nc_u16 v1, v1, v6
	v_add_nc_u32_e32 v2, v2, v3
	s_delay_alu instid0(VALU_DEP_2) | instskip(NEXT) | instid1(VALU_DEP_2)
	v_and_b32_e32 v1, 0xff, v1
	v_cmpx_gt_u32_e32 0x80, v2
	s_cbranch_execz .LBB19_24
; %bb.23:
	s_delay_alu instid0(VALU_DEP_2) | instskip(NEXT) | instid1(VALU_DEP_1)
	v_mad_u64_u32 v[6:7], null, v2, s6, v[1:2]
	v_ashrrev_i32_e32 v7, 31, v6
	s_delay_alu instid0(VALU_DEP_1) | instskip(NEXT) | instid1(VALU_DEP_1)
	v_lshlrev_b64 v[6:7], 2, v[6:7]
	v_add_co_u32 v6, vcc_lo, v4, v6
	s_delay_alu instid0(VALU_DEP_2) | instskip(SKIP_2) | instid1(VALU_DEP_1)
	v_add_co_ci_u32_e32 v7, vcc_lo, v5, v7, vcc_lo
	global_load_b32 v3, v[6:7], off
	v_mad_u64_u32 v[6:7], null, v2, 46, v[1:2]
	v_lshl_add_u32 v6, v6, 2, 0
	s_waitcnt vmcnt(0)
	ds_store_b32 v6, v3
.LBB19_24:
	s_or_b32 exec_lo, exec_lo, s2
	s_clause 0x1
	s_load_b128 s[8:11], s[0:1], 0x8
	s_load_b64 s[4:5], s[0:1], 0x28
	s_mov_b32 s2, exec_lo
	v_cmpx_gt_u32_e32 0x380, v0
	s_cbranch_execz .LBB19_45
; %bb.25:
	v_or_b32_e32 v1, 0xffffff80, v1
	s_mov_b32 s3, exec_lo
	s_delay_alu instid0(VALU_DEP_1) | instskip(NEXT) | instid1(VALU_DEP_1)
	v_lshrrev_b16 v3, 1, v1
	v_and_b32_e32 v3, 0x7f, v3
	s_delay_alu instid0(VALU_DEP_1) | instskip(NEXT) | instid1(VALU_DEP_1)
	v_mul_lo_u16 v3, 0xb3, v3
	v_lshrrev_b16 v3, 12, v3
	s_delay_alu instid0(VALU_DEP_1) | instskip(SKIP_1) | instid1(VALU_DEP_2)
	v_mul_lo_u16 v6, v3, 46
	v_and_b32_e32 v3, 0xffff, v3
	v_sub_nc_u16 v1, v1, v6
	s_delay_alu instid0(VALU_DEP_2) | instskip(NEXT) | instid1(VALU_DEP_2)
	v_add_nc_u32_e32 v2, v2, v3
	v_and_b32_e32 v1, 0xff, v1
	s_delay_alu instid0(VALU_DEP_2)
	v_cmpx_gt_u32_e32 0x80, v2
	s_cbranch_execz .LBB19_27
; %bb.26:
	s_delay_alu instid0(VALU_DEP_2) | instskip(NEXT) | instid1(VALU_DEP_1)
	v_mad_u64_u32 v[6:7], null, v2, s6, v[1:2]
	v_ashrrev_i32_e32 v7, 31, v6
	s_delay_alu instid0(VALU_DEP_1) | instskip(NEXT) | instid1(VALU_DEP_1)
	v_lshlrev_b64 v[6:7], 2, v[6:7]
	v_add_co_u32 v6, vcc_lo, v4, v6
	s_delay_alu instid0(VALU_DEP_2) | instskip(SKIP_2) | instid1(VALU_DEP_1)
	v_add_co_ci_u32_e32 v7, vcc_lo, v5, v7, vcc_lo
	global_load_b32 v3, v[6:7], off
	v_mad_u64_u32 v[6:7], null, v2, 46, v[1:2]
	v_lshl_add_u32 v6, v6, 2, 0
	s_waitcnt vmcnt(0)
	ds_store_b32 v6, v3
.LBB19_27:
	s_or_b32 exec_lo, exec_lo, s3
	v_cmp_gt_u32_e32 vcc_lo, 0x300, v0
	s_and_b32 exec_lo, exec_lo, vcc_lo
	s_cbranch_execz .LBB19_45
; %bb.28:
	v_or_b32_e32 v1, 0xffffff80, v1
	s_mov_b32 s3, exec_lo
	s_delay_alu instid0(VALU_DEP_1) | instskip(NEXT) | instid1(VALU_DEP_1)
	v_lshrrev_b16 v3, 1, v1
	v_and_b32_e32 v3, 0x7f, v3
	s_delay_alu instid0(VALU_DEP_1) | instskip(NEXT) | instid1(VALU_DEP_1)
	v_mul_lo_u16 v3, 0xb3, v3
	v_lshrrev_b16 v3, 12, v3
	s_delay_alu instid0(VALU_DEP_1) | instskip(SKIP_1) | instid1(VALU_DEP_2)
	v_mul_lo_u16 v6, v3, 46
	v_and_b32_e32 v3, 0xffff, v3
	v_sub_nc_u16 v1, v1, v6
	s_delay_alu instid0(VALU_DEP_2) | instskip(NEXT) | instid1(VALU_DEP_2)
	v_add_nc_u32_e32 v2, v2, v3
	v_and_b32_e32 v1, 0xff, v1
	s_delay_alu instid0(VALU_DEP_2)
	v_cmpx_gt_u32_e32 0x80, v2
	s_cbranch_execz .LBB19_30
; %bb.29:
	s_delay_alu instid0(VALU_DEP_2) | instskip(NEXT) | instid1(VALU_DEP_1)
	v_mad_u64_u32 v[6:7], null, v2, s6, v[1:2]
	v_ashrrev_i32_e32 v7, 31, v6
	s_delay_alu instid0(VALU_DEP_1) | instskip(NEXT) | instid1(VALU_DEP_1)
	v_lshlrev_b64 v[6:7], 2, v[6:7]
	v_add_co_u32 v6, vcc_lo, v4, v6
	s_delay_alu instid0(VALU_DEP_2) | instskip(SKIP_2) | instid1(VALU_DEP_1)
	v_add_co_ci_u32_e32 v7, vcc_lo, v5, v7, vcc_lo
	global_load_b32 v3, v[6:7], off
	v_mad_u64_u32 v[6:7], null, v2, 46, v[1:2]
	v_lshl_add_u32 v6, v6, 2, 0
	s_waitcnt vmcnt(0)
	ds_store_b32 v6, v3
.LBB19_30:
	s_or_b32 exec_lo, exec_lo, s3
	v_cmp_gt_u32_e32 vcc_lo, 0x280, v0
	s_and_b32 exec_lo, exec_lo, vcc_lo
	;; [unrolled: 38-line block ×6, first 2 shown]
	s_cbranch_execz .LBB19_45
; %bb.43:
	v_or_b32_e32 v3, 0x80, v1
	s_delay_alu instid0(VALU_DEP_1) | instskip(NEXT) | instid1(VALU_DEP_1)
	v_lshrrev_b16 v1, 1, v3
	v_mul_lo_u16 v1, 0xb3, v1
	s_delay_alu instid0(VALU_DEP_1) | instskip(NEXT) | instid1(VALU_DEP_1)
	v_lshrrev_b16 v6, 12, v1
	v_and_b32_e32 v1, 0xffff, v6
	s_delay_alu instid0(VALU_DEP_1) | instskip(NEXT) | instid1(VALU_DEP_1)
	v_add_nc_u32_e32 v1, v2, v1
	v_cmp_gt_u32_e32 vcc_lo, 0x80, v1
	s_and_b32 exec_lo, exec_lo, vcc_lo
	s_cbranch_execz .LBB19_45
; %bb.44:
	v_mul_lo_u16 v2, v6, 46
	s_delay_alu instid0(VALU_DEP_1) | instskip(NEXT) | instid1(VALU_DEP_1)
	v_sub_nc_u16 v2, v3, v2
	v_and_b32_e32 v2, 0xff, v2
	s_delay_alu instid0(VALU_DEP_1) | instskip(NEXT) | instid1(VALU_DEP_1)
	v_mad_u64_u32 v[6:7], null, v1, s6, v[2:3]
	v_ashrrev_i32_e32 v7, 31, v6
	s_delay_alu instid0(VALU_DEP_1) | instskip(NEXT) | instid1(VALU_DEP_1)
	v_lshlrev_b64 v[6:7], 2, v[6:7]
	v_add_co_u32 v3, vcc_lo, v4, v6
	s_delay_alu instid0(VALU_DEP_2) | instskip(SKIP_2) | instid1(VALU_DEP_1)
	v_add_co_ci_u32_e32 v4, vcc_lo, v5, v7, vcc_lo
	global_load_b32 v5, v[3:4], off
	v_mad_u64_u32 v[3:4], null, v1, 46, v[2:3]
	v_lshl_add_u32 v1, v3, 2, 0
	s_waitcnt vmcnt(0)
	ds_store_b32 v1, v5
.LBB19_45:
	s_or_b32 exec_lo, exec_lo, s2
	s_ashr_i32 s2, s7, 31
	s_mul_hi_u32 s3, s16, s7
	s_mul_i32 s2, s16, s2
	s_mul_i32 s6, s17, s7
	s_add_i32 s2, s3, s2
	s_mul_i32 s3, s16, s7
	s_add_i32 s2, s2, s6
	s_waitcnt lgkmcnt(0)
	s_add_u32 s3, s8, s3
	s_addc_u32 s2, s9, s2
	s_ashr_i32 s6, s7, 2
	s_delay_alu instid0(SALU_CYCLE_1)
	v_mul_lo_u32 v1, s6, v0
	s_barrier
	buffer_gl0_inv
	v_lshlrev_b32_e32 v17, 2, v0
	s_cmp_eq_u64 s[10:11], 0
	v_ashrrev_i32_e32 v2, 31, v1
	s_delay_alu instid0(VALU_DEP_1) | instskip(NEXT) | instid1(VALU_DEP_1)
	v_lshlrev_b64 v[1:2], 2, v[1:2]
	v_add_co_u32 v9, vcc_lo, s3, v1
	s_delay_alu instid0(VALU_DEP_2)
	v_add_co_ci_u32_e32 v10, vcc_lo, s2, v2, vcc_lo
	s_clause 0x3
	global_load_b96 v[13:15], v[9:10], off offset:48
	global_load_b128 v[1:4], v[9:10], off offset:32
	global_load_b128 v[5:8], v[9:10], off offset:16
	global_load_b128 v[9:12], v[9:10], off
	s_cbranch_scc1 .LBB19_47
; %bb.46:
	s_lshl_b64 s[2:3], s[16:17], 2
	s_delay_alu instid0(SALU_CYCLE_1)
	s_add_u32 s2, s10, s2
	s_addc_u32 s3, s11, s3
	global_load_b32 v20, v17, s[2:3]
	s_branch .LBB19_48
.LBB19_47:
	v_mov_b32_e32 v20, 0
.LBB19_48:
	s_load_b64 s[2:3], s[0:1], 0x40
	s_waitcnt lgkmcnt(0)
	s_sub_u32 s6, s2, s14
	s_subb_u32 s7, s3, s15
	s_delay_alu instid0(SALU_CYCLE_1) | instskip(NEXT) | instid1(VALU_DEP_1)
	v_cmp_lt_i64_e64 s2, s[6:7], 1
	s_and_b32 vcc_lo, exec_lo, s2
	s_cbranch_vccnz .LBB19_51
; %bb.49:
	s_load_b128 s[0:3], s[0:1], 0x30
	v_mul_u32_u24_e32 v0, 46, v0
	s_waitcnt lgkmcnt(0)
	v_cmp_lt_i64_e64 s3, s[6:7], 32
	s_delay_alu instid0(VALU_DEP_2)
	v_lshl_add_u32 v0, v0, 2, 0
	ds_load_b32 v16, v0
	s_ashr_i32 s8, s1, 31
	s_ashr_i32 s11, s0, 31
	s_mul_hi_u32 s9, s14, s1
	s_mul_hi_u32 s12, s16, s0
	s_mul_i32 s8, s14, s8
	s_mul_i32 s11, s16, s11
	;; [unrolled: 1-line block ×5, first 2 shown]
	s_add_i32 s8, s9, s8
	s_add_i32 s9, s12, s11
	s_ashr_i32 s2, s1, 2
	s_ashr_i32 s17, s13, 31
	s_add_i32 s8, s8, s10
	s_add_i32 s9, s9, s15
	s_and_b32 s3, s3, exec_lo
	s_cselect_b32 s7, s7, 0
	s_cselect_b32 s6, s6, 32
	s_mul_i32 s11, s14, s1
	v_cmp_gt_i64_e64 s10, s[6:7], 1
	s_mul_i32 s12, s16, s0
	s_ashr_i32 s3, s2, 31
	s_delay_alu instid0(VALU_DEP_1)
	s_and_b32 s0, s10, exec_lo
	s_cselect_b32 s1, s7, 0
	s_cselect_b32 s0, s6, 1
	s_add_u32 s6, s12, s11
	s_addc_u32 s7, s9, s8
	s_add_u32 s4, s4, s13
	s_addc_u32 s5, s5, s17
	s_add_u32 s4, s4, s6
	s_addc_u32 s5, s5, s7
	v_add_co_u32 v18, s4, s4, v17
	s_delay_alu instid0(VALU_DEP_1)
	v_add_co_ci_u32_e64 v19, null, s5, 0, s4
	s_lshl_b64 s[2:3], s[2:3], 2
	s_set_inst_prefetch_distance 0x1
	.p2align	6
.LBB19_50:                              ; =>This Inner Loop Header: Depth=1
	s_waitcnt vmcnt(0) lgkmcnt(0)
	v_fma_f32 v33, v9, v16, 0
	ds_load_2addr_b32 v[16:17], v0 offset0:1 offset1:2
	ds_load_2addr_b32 v[21:22], v0 offset0:3 offset1:4
	;; [unrolled: 1-line block ×7, first 2 shown]
	s_add_u32 s0, s0, -1
	s_addc_u32 s1, s1, -1
	s_delay_alu instid0(SALU_CYCLE_1) | instskip(SKIP_2) | instid1(VALU_DEP_1)
	s_cmp_lg_u64 s[0:1], 0
	s_waitcnt lgkmcnt(6)
	v_fmac_f32_e32 v33, v10, v16
	v_dual_fmac_f32 v33, v11, v17 :: v_dual_add_nc_u32 v34, 4, v0
	s_waitcnt lgkmcnt(5)
	s_delay_alu instid0(VALU_DEP_1) | instskip(NEXT) | instid1(VALU_DEP_1)
	v_dual_mov_b32 v0, v34 :: v_dual_fmac_f32 v33, v12, v21
	v_fmac_f32_e32 v33, v5, v22
	s_waitcnt lgkmcnt(4)
	s_delay_alu instid0(VALU_DEP_1) | instskip(NEXT) | instid1(VALU_DEP_1)
	v_fmac_f32_e32 v33, v6, v23
	v_fmac_f32_e32 v33, v7, v24
	s_waitcnt lgkmcnt(3)
	s_delay_alu instid0(VALU_DEP_1) | instskip(NEXT) | instid1(VALU_DEP_1)
	v_fmac_f32_e32 v33, v8, v25
	;; [unrolled: 4-line block ×5, first 2 shown]
	v_fmac_f32_e32 v33, v15, v32
	s_delay_alu instid0(VALU_DEP_1)
	v_add_f32_e32 v17, v20, v33
	global_store_b32 v[18:19], v17, off
	v_add_co_u32 v18, vcc_lo, v18, s2
	v_add_co_ci_u32_e32 v19, vcc_lo, s3, v19, vcc_lo
	s_cbranch_scc1 .LBB19_50
.LBB19_51:
	s_set_inst_prefetch_distance 0x2
	s_nop 0
	s_sendmsg sendmsg(MSG_DEALLOC_VGPRS)
	s_endpgm
	.section	.rodata,"a",@progbits
	.p2align	6, 0x0
	.amdhsa_kernel _ZL23ssm_conv_long_token_f32ILb0ELm128ELm15ELl32EEvPKfS1_S1_iiiiPfiiil
		.amdhsa_group_segment_fixed_size 0
		.amdhsa_private_segment_fixed_size 0
		.amdhsa_kernarg_size 72
		.amdhsa_user_sgpr_count 13
		.amdhsa_user_sgpr_dispatch_ptr 0
		.amdhsa_user_sgpr_queue_ptr 0
		.amdhsa_user_sgpr_kernarg_segment_ptr 1
		.amdhsa_user_sgpr_dispatch_id 0
		.amdhsa_user_sgpr_private_segment_size 0
		.amdhsa_wavefront_size32 1
		.amdhsa_uses_dynamic_stack 0
		.amdhsa_enable_private_segment 0
		.amdhsa_system_sgpr_workgroup_id_x 1
		.amdhsa_system_sgpr_workgroup_id_y 1
		.amdhsa_system_sgpr_workgroup_id_z 1
		.amdhsa_system_sgpr_workgroup_info 0
		.amdhsa_system_vgpr_workitem_id 0
		.amdhsa_next_free_vgpr 94
		.amdhsa_next_free_sgpr 19
		.amdhsa_reserve_vcc 1
		.amdhsa_float_round_mode_32 0
		.amdhsa_float_round_mode_16_64 0
		.amdhsa_float_denorm_mode_32 3
		.amdhsa_float_denorm_mode_16_64 3
		.amdhsa_dx10_clamp 1
		.amdhsa_ieee_mode 1
		.amdhsa_fp16_overflow 0
		.amdhsa_workgroup_processor_mode 1
		.amdhsa_memory_ordered 1
		.amdhsa_forward_progress 0
		.amdhsa_shared_vgpr_count 0
		.amdhsa_exception_fp_ieee_invalid_op 0
		.amdhsa_exception_fp_denorm_src 0
		.amdhsa_exception_fp_ieee_div_zero 0
		.amdhsa_exception_fp_ieee_overflow 0
		.amdhsa_exception_fp_ieee_underflow 0
		.amdhsa_exception_fp_ieee_inexact 0
		.amdhsa_exception_int_div_zero 0
	.end_amdhsa_kernel
	.section	.text._ZL23ssm_conv_long_token_f32ILb0ELm128ELm15ELl32EEvPKfS1_S1_iiiiPfiiil,"axG",@progbits,_ZL23ssm_conv_long_token_f32ILb0ELm128ELm15ELl32EEvPKfS1_S1_iiiiPfiiil,comdat
.Lfunc_end19:
	.size	_ZL23ssm_conv_long_token_f32ILb0ELm128ELm15ELl32EEvPKfS1_S1_iiiiPfiiil, .Lfunc_end19-_ZL23ssm_conv_long_token_f32ILb0ELm128ELm15ELl32EEvPKfS1_S1_iiiiPfiiil
                                        ; -- End function
	.section	.AMDGPU.csdata,"",@progbits
; Kernel info:
; codeLenInByte = 9104
; NumSgprs: 21
; NumVgprs: 94
; ScratchSize: 0
; MemoryBound: 0
; FloatMode: 240
; IeeeMode: 1
; LDSByteSize: 0 bytes/workgroup (compile time only)
; SGPRBlocks: 2
; VGPRBlocks: 11
; NumSGPRsForWavesPerEU: 21
; NumVGPRsForWavesPerEU: 94
; Occupancy: 16
; WaveLimiterHint : 0
; COMPUTE_PGM_RSRC2:SCRATCH_EN: 0
; COMPUTE_PGM_RSRC2:USER_SGPR: 13
; COMPUTE_PGM_RSRC2:TRAP_HANDLER: 0
; COMPUTE_PGM_RSRC2:TGID_X_EN: 1
; COMPUTE_PGM_RSRC2:TGID_Y_EN: 1
; COMPUTE_PGM_RSRC2:TGID_Z_EN: 1
; COMPUTE_PGM_RSRC2:TIDIG_COMP_CNT: 0
	.text
	.p2alignl 7, 3214868480
	.fill 96, 4, 3214868480
	.type	__hip_cuid_dd7935ee30eaaab8,@object ; @__hip_cuid_dd7935ee30eaaab8
	.section	.bss,"aw",@nobits
	.globl	__hip_cuid_dd7935ee30eaaab8
__hip_cuid_dd7935ee30eaaab8:
	.byte	0                               ; 0x0
	.size	__hip_cuid_dd7935ee30eaaab8, 1

	.ident	"AMD clang version 19.0.0git (https://github.com/RadeonOpenCompute/llvm-project roc-6.4.0 25133 c7fe45cf4b819c5991fe208aaa96edf142730f1d)"
	.section	".note.GNU-stack","",@progbits
	.addrsig
	.addrsig_sym __hip_cuid_dd7935ee30eaaab8
	.amdgpu_metadata
---
amdhsa.kernels:
  - .args:
      - .address_space:  global
        .offset:         0
        .size:           8
        .value_kind:     global_buffer
      - .address_space:  global
        .offset:         8
        .size:           8
        .value_kind:     global_buffer
      - .address_space:  global
        .offset:         16
        .size:           8
        .value_kind:     global_buffer
      - .offset:         24
        .size:           4
        .value_kind:     by_value
      - .offset:         28
        .size:           4
        .value_kind:     by_value
      - .offset:         32
        .size:           4
        .value_kind:     by_value
      - .offset:         36
        .size:           4
        .value_kind:     by_value
      - .address_space:  global
        .offset:         40
        .size:           8
        .value_kind:     global_buffer
      - .offset:         48
        .size:           4
        .value_kind:     by_value
      - .offset:         52
        .size:           4
        .value_kind:     by_value
      - .offset:         56
        .size:           4
        .value_kind:     by_value
      - .offset:         64
        .size:           8
        .value_kind:     by_value
    .group_segment_fixed_size: 0
    .kernarg_segment_align: 8
    .kernarg_segment_size: 72
    .language:       OpenCL C
    .language_version:
      - 2
      - 0
    .max_flat_workgroup_size: 1024
    .name:           _ZL12ssm_conv_f32ILb1ELm128ELm3EEvPKfS1_S1_iiiiPfiiil
    .private_segment_fixed_size: 0
    .sgpr_count:     43
    .sgpr_spill_count: 0
    .symbol:         _ZL12ssm_conv_f32ILb1ELm128ELm3EEvPKfS1_S1_iiiiPfiiil.kd
    .uniform_work_group_size: 1
    .uses_dynamic_stack: false
    .vgpr_count:     20
    .vgpr_spill_count: 0
    .wavefront_size: 32
    .workgroup_processor_mode: 1
  - .args:
      - .actual_access:  read_only
        .address_space:  global
        .offset:         0
        .size:           8
        .value_kind:     global_buffer
      - .actual_access:  read_only
        .address_space:  global
        .offset:         8
        .size:           8
        .value_kind:     global_buffer
      - .actual_access:  read_only
        .address_space:  global
        .offset:         16
        .size:           8
        .value_kind:     global_buffer
      - .offset:         24
        .size:           4
        .value_kind:     by_value
      - .offset:         28
        .size:           4
        .value_kind:     by_value
      - .offset:         32
        .size:           4
        .value_kind:     by_value
      - .offset:         36
        .size:           4
        .value_kind:     by_value
      - .actual_access:  write_only
        .address_space:  global
        .offset:         40
        .size:           8
        .value_kind:     global_buffer
      - .offset:         48
        .size:           4
        .value_kind:     by_value
      - .offset:         52
        .size:           4
        .value_kind:     by_value
      - .offset:         56
        .size:           4
        .value_kind:     by_value
      - .offset:         64
        .size:           8
        .value_kind:     by_value
    .group_segment_fixed_size: 0
    .kernarg_segment_align: 8
    .kernarg_segment_size: 72
    .language:       OpenCL C
    .language_version:
      - 2
      - 0
    .max_flat_workgroup_size: 1024
    .name:           _ZL23ssm_conv_long_token_f32ILb1ELm128ELm3ELl32EEvPKfS1_S1_iiiiPfiiil
    .private_segment_fixed_size: 0
    .sgpr_count:     26
    .sgpr_spill_count: 0
    .symbol:         _ZL23ssm_conv_long_token_f32ILb1ELm128ELm3ELl32EEvPKfS1_S1_iiiiPfiiil.kd
    .uniform_work_group_size: 1
    .uses_dynamic_stack: false
    .vgpr_count:     74
    .vgpr_spill_count: 0
    .wavefront_size: 32
    .workgroup_processor_mode: 1
  - .args:
      - .address_space:  global
        .offset:         0
        .size:           8
        .value_kind:     global_buffer
      - .address_space:  global
        .offset:         8
        .size:           8
        .value_kind:     global_buffer
      - .address_space:  global
        .offset:         16
        .size:           8
        .value_kind:     global_buffer
      - .offset:         24
        .size:           4
        .value_kind:     by_value
      - .offset:         28
        .size:           4
        .value_kind:     by_value
      - .offset:         32
        .size:           4
        .value_kind:     by_value
      - .offset:         36
        .size:           4
        .value_kind:     by_value
      - .address_space:  global
        .offset:         40
        .size:           8
        .value_kind:     global_buffer
      - .offset:         48
        .size:           4
        .value_kind:     by_value
      - .offset:         52
        .size:           4
        .value_kind:     by_value
      - .offset:         56
        .size:           4
        .value_kind:     by_value
      - .offset:         64
        .size:           8
        .value_kind:     by_value
    .group_segment_fixed_size: 0
    .kernarg_segment_align: 8
    .kernarg_segment_size: 72
    .language:       OpenCL C
    .language_version:
      - 2
      - 0
    .max_flat_workgroup_size: 1024
    .name:           _ZL12ssm_conv_f32ILb1ELm128ELm4EEvPKfS1_S1_iiiiPfiiil
    .private_segment_fixed_size: 0
    .sgpr_count:     29
    .sgpr_spill_count: 0
    .symbol:         _ZL12ssm_conv_f32ILb1ELm128ELm4EEvPKfS1_S1_iiiiPfiiil.kd
    .uniform_work_group_size: 1
    .uses_dynamic_stack: false
    .vgpr_count:     20
    .vgpr_spill_count: 0
    .wavefront_size: 32
    .workgroup_processor_mode: 1
  - .args:
      - .actual_access:  read_only
        .address_space:  global
        .offset:         0
        .size:           8
        .value_kind:     global_buffer
      - .actual_access:  read_only
        .address_space:  global
        .offset:         8
        .size:           8
        .value_kind:     global_buffer
      - .actual_access:  read_only
        .address_space:  global
        .offset:         16
        .size:           8
        .value_kind:     global_buffer
      - .offset:         24
        .size:           4
        .value_kind:     by_value
      - .offset:         28
        .size:           4
        .value_kind:     by_value
      - .offset:         32
        .size:           4
        .value_kind:     by_value
      - .offset:         36
        .size:           4
        .value_kind:     by_value
      - .actual_access:  write_only
        .address_space:  global
        .offset:         40
        .size:           8
        .value_kind:     global_buffer
      - .offset:         48
        .size:           4
        .value_kind:     by_value
      - .offset:         52
        .size:           4
        .value_kind:     by_value
      - .offset:         56
        .size:           4
        .value_kind:     by_value
      - .offset:         64
        .size:           8
        .value_kind:     by_value
    .group_segment_fixed_size: 0
    .kernarg_segment_align: 8
    .kernarg_segment_size: 72
    .language:       OpenCL C
    .language_version:
      - 2
      - 0
    .max_flat_workgroup_size: 1024
    .name:           _ZL23ssm_conv_long_token_f32ILb1ELm128ELm4ELl32EEvPKfS1_S1_iiiiPfiiil
    .private_segment_fixed_size: 0
    .sgpr_count:     26
    .sgpr_spill_count: 0
    .symbol:         _ZL23ssm_conv_long_token_f32ILb1ELm128ELm4ELl32EEvPKfS1_S1_iiiiPfiiil.kd
    .uniform_work_group_size: 1
    .uses_dynamic_stack: false
    .vgpr_count:     74
    .vgpr_spill_count: 0
    .wavefront_size: 32
    .workgroup_processor_mode: 1
  - .args:
      - .address_space:  global
        .offset:         0
        .size:           8
        .value_kind:     global_buffer
      - .address_space:  global
        .offset:         8
        .size:           8
        .value_kind:     global_buffer
      - .address_space:  global
        .offset:         16
        .size:           8
        .value_kind:     global_buffer
      - .offset:         24
        .size:           4
        .value_kind:     by_value
      - .offset:         28
        .size:           4
        .value_kind:     by_value
      - .offset:         32
        .size:           4
        .value_kind:     by_value
      - .offset:         36
        .size:           4
        .value_kind:     by_value
      - .address_space:  global
        .offset:         40
        .size:           8
        .value_kind:     global_buffer
      - .offset:         48
        .size:           4
        .value_kind:     by_value
      - .offset:         52
        .size:           4
        .value_kind:     by_value
      - .offset:         56
        .size:           4
        .value_kind:     by_value
      - .offset:         64
        .size:           8
        .value_kind:     by_value
    .group_segment_fixed_size: 0
    .kernarg_segment_align: 8
    .kernarg_segment_size: 72
    .language:       OpenCL C
    .language_version:
      - 2
      - 0
    .max_flat_workgroup_size: 1024
    .name:           _ZL12ssm_conv_f32ILb1ELm128ELm5EEvPKfS1_S1_iiiiPfiiil
    .private_segment_fixed_size: 0
    .sgpr_count:     61
    .sgpr_spill_count: 0
    .symbol:         _ZL12ssm_conv_f32ILb1ELm128ELm5EEvPKfS1_S1_iiiiPfiiil.kd
    .uniform_work_group_size: 1
    .uses_dynamic_stack: false
    .vgpr_count:     26
    .vgpr_spill_count: 0
    .wavefront_size: 32
    .workgroup_processor_mode: 1
  - .args:
      - .actual_access:  read_only
        .address_space:  global
        .offset:         0
        .size:           8
        .value_kind:     global_buffer
      - .actual_access:  read_only
        .address_space:  global
        .offset:         8
        .size:           8
        .value_kind:     global_buffer
      - .actual_access:  read_only
        .address_space:  global
        .offset:         16
        .size:           8
        .value_kind:     global_buffer
      - .offset:         24
        .size:           4
        .value_kind:     by_value
      - .offset:         28
        .size:           4
        .value_kind:     by_value
      - .offset:         32
        .size:           4
        .value_kind:     by_value
      - .offset:         36
        .size:           4
        .value_kind:     by_value
      - .actual_access:  write_only
        .address_space:  global
        .offset:         40
        .size:           8
        .value_kind:     global_buffer
      - .offset:         48
        .size:           4
        .value_kind:     by_value
      - .offset:         52
        .size:           4
        .value_kind:     by_value
      - .offset:         56
        .size:           4
        .value_kind:     by_value
      - .offset:         64
        .size:           8
        .value_kind:     by_value
    .group_segment_fixed_size: 0
    .kernarg_segment_align: 8
    .kernarg_segment_size: 72
    .language:       OpenCL C
    .language_version:
      - 2
      - 0
    .max_flat_workgroup_size: 1024
    .name:           _ZL23ssm_conv_long_token_f32ILb1ELm128ELm5ELl32EEvPKfS1_S1_iiiiPfiiil
    .private_segment_fixed_size: 0
    .sgpr_count:     26
    .sgpr_spill_count: 0
    .symbol:         _ZL23ssm_conv_long_token_f32ILb1ELm128ELm5ELl32EEvPKfS1_S1_iiiiPfiiil.kd
    .uniform_work_group_size: 1
    .uses_dynamic_stack: false
    .vgpr_count:     74
    .vgpr_spill_count: 0
    .wavefront_size: 32
    .workgroup_processor_mode: 1
  - .args:
      - .address_space:  global
        .offset:         0
        .size:           8
        .value_kind:     global_buffer
      - .address_space:  global
        .offset:         8
        .size:           8
        .value_kind:     global_buffer
      - .address_space:  global
        .offset:         16
        .size:           8
        .value_kind:     global_buffer
      - .offset:         24
        .size:           4
        .value_kind:     by_value
      - .offset:         28
        .size:           4
        .value_kind:     by_value
      - .offset:         32
        .size:           4
        .value_kind:     by_value
      - .offset:         36
        .size:           4
        .value_kind:     by_value
      - .address_space:  global
        .offset:         40
        .size:           8
        .value_kind:     global_buffer
      - .offset:         48
        .size:           4
        .value_kind:     by_value
      - .offset:         52
        .size:           4
        .value_kind:     by_value
      - .offset:         56
        .size:           4
        .value_kind:     by_value
      - .offset:         64
        .size:           8
        .value_kind:     by_value
    .group_segment_fixed_size: 0
    .kernarg_segment_align: 8
    .kernarg_segment_size: 72
    .language:       OpenCL C
    .language_version:
      - 2
      - 0
    .max_flat_workgroup_size: 1024
    .name:           _ZL12ssm_conv_f32ILb1ELm128ELm9EEvPKfS1_S1_iiiiPfiiil
    .private_segment_fixed_size: 0
    .sgpr_count:     97
    .sgpr_spill_count: 0
    .symbol:         _ZL12ssm_conv_f32ILb1ELm128ELm9EEvPKfS1_S1_iiiiPfiiil.kd
    .uniform_work_group_size: 1
    .uses_dynamic_stack: false
    .vgpr_count:     30
    .vgpr_spill_count: 0
    .wavefront_size: 32
    .workgroup_processor_mode: 1
  - .args:
      - .actual_access:  read_only
        .address_space:  global
        .offset:         0
        .size:           8
        .value_kind:     global_buffer
      - .actual_access:  read_only
        .address_space:  global
        .offset:         8
        .size:           8
        .value_kind:     global_buffer
      - .actual_access:  read_only
        .address_space:  global
        .offset:         16
        .size:           8
        .value_kind:     global_buffer
      - .offset:         24
        .size:           4
        .value_kind:     by_value
      - .offset:         28
        .size:           4
        .value_kind:     by_value
      - .offset:         32
        .size:           4
        .value_kind:     by_value
      - .offset:         36
        .size:           4
        .value_kind:     by_value
      - .actual_access:  write_only
        .address_space:  global
        .offset:         40
        .size:           8
        .value_kind:     global_buffer
      - .offset:         48
        .size:           4
        .value_kind:     by_value
      - .offset:         52
        .size:           4
        .value_kind:     by_value
      - .offset:         56
        .size:           4
        .value_kind:     by_value
      - .offset:         64
        .size:           8
        .value_kind:     by_value
    .group_segment_fixed_size: 0
    .kernarg_segment_align: 8
    .kernarg_segment_size: 72
    .language:       OpenCL C
    .language_version:
      - 2
      - 0
    .max_flat_workgroup_size: 1024
    .name:           _ZL23ssm_conv_long_token_f32ILb1ELm128ELm9ELl32EEvPKfS1_S1_iiiiPfiiil
    .private_segment_fixed_size: 0
    .sgpr_count:     26
    .sgpr_spill_count: 0
    .symbol:         _ZL23ssm_conv_long_token_f32ILb1ELm128ELm9ELl32EEvPKfS1_S1_iiiiPfiiil.kd
    .uniform_work_group_size: 1
    .uses_dynamic_stack: false
    .vgpr_count:     92
    .vgpr_spill_count: 0
    .wavefront_size: 32
    .workgroup_processor_mode: 1
  - .args:
      - .address_space:  global
        .offset:         0
        .size:           8
        .value_kind:     global_buffer
      - .address_space:  global
        .offset:         8
        .size:           8
        .value_kind:     global_buffer
      - .address_space:  global
        .offset:         16
        .size:           8
        .value_kind:     global_buffer
      - .offset:         24
        .size:           4
        .value_kind:     by_value
      - .offset:         28
        .size:           4
        .value_kind:     by_value
      - .offset:         32
        .size:           4
        .value_kind:     by_value
      - .offset:         36
        .size:           4
        .value_kind:     by_value
      - .address_space:  global
        .offset:         40
        .size:           8
        .value_kind:     global_buffer
      - .offset:         48
        .size:           4
        .value_kind:     by_value
      - .offset:         52
        .size:           4
        .value_kind:     by_value
      - .offset:         56
        .size:           4
        .value_kind:     by_value
      - .offset:         64
        .size:           8
        .value_kind:     by_value
    .group_segment_fixed_size: 0
    .kernarg_segment_align: 8
    .kernarg_segment_size: 72
    .language:       OpenCL C
    .language_version:
      - 2
      - 0
    .max_flat_workgroup_size: 1024
    .name:           _ZL12ssm_conv_f32ILb1ELm128ELm15EEvPKfS1_S1_iiiiPfiiil
    .private_segment_fixed_size: 0
    .sgpr_count:     107
    .sgpr_spill_count: 2
    .symbol:         _ZL12ssm_conv_f32ILb1ELm128ELm15EEvPKfS1_S1_iiiiPfiiil.kd
    .uniform_work_group_size: 1
    .uses_dynamic_stack: false
    .vgpr_count:     47
    .vgpr_spill_count: 0
    .wavefront_size: 32
    .workgroup_processor_mode: 1
  - .args:
      - .actual_access:  read_only
        .address_space:  global
        .offset:         0
        .size:           8
        .value_kind:     global_buffer
      - .actual_access:  read_only
        .address_space:  global
        .offset:         8
        .size:           8
        .value_kind:     global_buffer
      - .actual_access:  read_only
        .address_space:  global
        .offset:         16
        .size:           8
        .value_kind:     global_buffer
      - .offset:         24
        .size:           4
        .value_kind:     by_value
      - .offset:         28
        .size:           4
        .value_kind:     by_value
      - .offset:         32
        .size:           4
        .value_kind:     by_value
      - .offset:         36
        .size:           4
        .value_kind:     by_value
      - .actual_access:  write_only
        .address_space:  global
        .offset:         40
        .size:           8
        .value_kind:     global_buffer
      - .offset:         48
        .size:           4
        .value_kind:     by_value
      - .offset:         52
        .size:           4
        .value_kind:     by_value
      - .offset:         56
        .size:           4
        .value_kind:     by_value
      - .offset:         64
        .size:           8
        .value_kind:     by_value
    .group_segment_fixed_size: 0
    .kernarg_segment_align: 8
    .kernarg_segment_size: 72
    .language:       OpenCL C
    .language_version:
      - 2
      - 0
    .max_flat_workgroup_size: 1024
    .name:           _ZL23ssm_conv_long_token_f32ILb1ELm128ELm15ELl32EEvPKfS1_S1_iiiiPfiiil
    .private_segment_fixed_size: 0
    .sgpr_count:     21
    .sgpr_spill_count: 0
    .symbol:         _ZL23ssm_conv_long_token_f32ILb1ELm128ELm15ELl32EEvPKfS1_S1_iiiiPfiiil.kd
    .uniform_work_group_size: 1
    .uses_dynamic_stack: false
    .vgpr_count:     94
    .vgpr_spill_count: 0
    .wavefront_size: 32
    .workgroup_processor_mode: 1
  - .args:
      - .address_space:  global
        .offset:         0
        .size:           8
        .value_kind:     global_buffer
      - .address_space:  global
        .offset:         8
        .size:           8
        .value_kind:     global_buffer
      - .address_space:  global
        .offset:         16
        .size:           8
        .value_kind:     global_buffer
      - .offset:         24
        .size:           4
        .value_kind:     by_value
      - .offset:         28
        .size:           4
        .value_kind:     by_value
      - .offset:         32
        .size:           4
        .value_kind:     by_value
      - .offset:         36
        .size:           4
        .value_kind:     by_value
      - .address_space:  global
        .offset:         40
        .size:           8
        .value_kind:     global_buffer
      - .offset:         48
        .size:           4
        .value_kind:     by_value
      - .offset:         52
        .size:           4
        .value_kind:     by_value
      - .offset:         56
        .size:           4
        .value_kind:     by_value
      - .offset:         64
        .size:           8
        .value_kind:     by_value
    .group_segment_fixed_size: 0
    .kernarg_segment_align: 8
    .kernarg_segment_size: 72
    .language:       OpenCL C
    .language_version:
      - 2
      - 0
    .max_flat_workgroup_size: 1024
    .name:           _ZL12ssm_conv_f32ILb0ELm128ELm3EEvPKfS1_S1_iiiiPfiiil
    .private_segment_fixed_size: 0
    .sgpr_count:     43
    .sgpr_spill_count: 0
    .symbol:         _ZL12ssm_conv_f32ILb0ELm128ELm3EEvPKfS1_S1_iiiiPfiiil.kd
    .uniform_work_group_size: 1
    .uses_dynamic_stack: false
    .vgpr_count:     20
    .vgpr_spill_count: 0
    .wavefront_size: 32
    .workgroup_processor_mode: 1
  - .args:
      - .actual_access:  read_only
        .address_space:  global
        .offset:         0
        .size:           8
        .value_kind:     global_buffer
      - .actual_access:  read_only
        .address_space:  global
        .offset:         8
        .size:           8
        .value_kind:     global_buffer
      - .actual_access:  read_only
        .address_space:  global
        .offset:         16
        .size:           8
        .value_kind:     global_buffer
      - .offset:         24
        .size:           4
        .value_kind:     by_value
      - .offset:         28
        .size:           4
        .value_kind:     by_value
      - .offset:         32
        .size:           4
        .value_kind:     by_value
      - .offset:         36
        .size:           4
        .value_kind:     by_value
      - .actual_access:  write_only
        .address_space:  global
        .offset:         40
        .size:           8
        .value_kind:     global_buffer
      - .offset:         48
        .size:           4
        .value_kind:     by_value
      - .offset:         52
        .size:           4
        .value_kind:     by_value
      - .offset:         56
        .size:           4
        .value_kind:     by_value
      - .offset:         64
        .size:           8
        .value_kind:     by_value
    .group_segment_fixed_size: 0
    .kernarg_segment_align: 8
    .kernarg_segment_size: 72
    .language:       OpenCL C
    .language_version:
      - 2
      - 0
    .max_flat_workgroup_size: 1024
    .name:           _ZL23ssm_conv_long_token_f32ILb0ELm128ELm3ELl32EEvPKfS1_S1_iiiiPfiiil
    .private_segment_fixed_size: 0
    .sgpr_count:     25
    .sgpr_spill_count: 0
    .symbol:         _ZL23ssm_conv_long_token_f32ILb0ELm128ELm3ELl32EEvPKfS1_S1_iiiiPfiiil.kd
    .uniform_work_group_size: 1
    .uses_dynamic_stack: false
    .vgpr_count:     74
    .vgpr_spill_count: 0
    .wavefront_size: 32
    .workgroup_processor_mode: 1
  - .args:
      - .address_space:  global
        .offset:         0
        .size:           8
        .value_kind:     global_buffer
      - .address_space:  global
        .offset:         8
        .size:           8
        .value_kind:     global_buffer
      - .address_space:  global
        .offset:         16
        .size:           8
        .value_kind:     global_buffer
      - .offset:         24
        .size:           4
        .value_kind:     by_value
      - .offset:         28
        .size:           4
        .value_kind:     by_value
      - .offset:         32
        .size:           4
        .value_kind:     by_value
      - .offset:         36
        .size:           4
        .value_kind:     by_value
      - .address_space:  global
        .offset:         40
        .size:           8
        .value_kind:     global_buffer
      - .offset:         48
        .size:           4
        .value_kind:     by_value
      - .offset:         52
        .size:           4
        .value_kind:     by_value
      - .offset:         56
        .size:           4
        .value_kind:     by_value
      - .offset:         64
        .size:           8
        .value_kind:     by_value
    .group_segment_fixed_size: 0
    .kernarg_segment_align: 8
    .kernarg_segment_size: 72
    .language:       OpenCL C
    .language_version:
      - 2
      - 0
    .max_flat_workgroup_size: 1024
    .name:           _ZL12ssm_conv_f32ILb0ELm128ELm4EEvPKfS1_S1_iiiiPfiiil
    .private_segment_fixed_size: 0
    .sgpr_count:     29
    .sgpr_spill_count: 0
    .symbol:         _ZL12ssm_conv_f32ILb0ELm128ELm4EEvPKfS1_S1_iiiiPfiiil.kd
    .uniform_work_group_size: 1
    .uses_dynamic_stack: false
    .vgpr_count:     17
    .vgpr_spill_count: 0
    .wavefront_size: 32
    .workgroup_processor_mode: 1
  - .args:
      - .actual_access:  read_only
        .address_space:  global
        .offset:         0
        .size:           8
        .value_kind:     global_buffer
      - .actual_access:  read_only
        .address_space:  global
        .offset:         8
        .size:           8
        .value_kind:     global_buffer
      - .actual_access:  read_only
        .address_space:  global
        .offset:         16
        .size:           8
        .value_kind:     global_buffer
      - .offset:         24
        .size:           4
        .value_kind:     by_value
      - .offset:         28
        .size:           4
        .value_kind:     by_value
      - .offset:         32
        .size:           4
        .value_kind:     by_value
      - .offset:         36
        .size:           4
        .value_kind:     by_value
      - .actual_access:  write_only
        .address_space:  global
        .offset:         40
        .size:           8
        .value_kind:     global_buffer
      - .offset:         48
        .size:           4
        .value_kind:     by_value
      - .offset:         52
        .size:           4
        .value_kind:     by_value
      - .offset:         56
        .size:           4
        .value_kind:     by_value
      - .offset:         64
        .size:           8
        .value_kind:     by_value
    .group_segment_fixed_size: 0
    .kernarg_segment_align: 8
    .kernarg_segment_size: 72
    .language:       OpenCL C
    .language_version:
      - 2
      - 0
    .max_flat_workgroup_size: 1024
    .name:           _ZL23ssm_conv_long_token_f32ILb0ELm128ELm4ELl32EEvPKfS1_S1_iiiiPfiiil
    .private_segment_fixed_size: 0
    .sgpr_count:     25
    .sgpr_spill_count: 0
    .symbol:         _ZL23ssm_conv_long_token_f32ILb0ELm128ELm4ELl32EEvPKfS1_S1_iiiiPfiiil.kd
    .uniform_work_group_size: 1
    .uses_dynamic_stack: false
    .vgpr_count:     74
    .vgpr_spill_count: 0
    .wavefront_size: 32
    .workgroup_processor_mode: 1
  - .args:
      - .address_space:  global
        .offset:         0
        .size:           8
        .value_kind:     global_buffer
      - .address_space:  global
        .offset:         8
        .size:           8
        .value_kind:     global_buffer
      - .address_space:  global
        .offset:         16
        .size:           8
        .value_kind:     global_buffer
      - .offset:         24
        .size:           4
        .value_kind:     by_value
      - .offset:         28
        .size:           4
        .value_kind:     by_value
      - .offset:         32
        .size:           4
        .value_kind:     by_value
      - .offset:         36
        .size:           4
        .value_kind:     by_value
      - .address_space:  global
        .offset:         40
        .size:           8
        .value_kind:     global_buffer
      - .offset:         48
        .size:           4
        .value_kind:     by_value
      - .offset:         52
        .size:           4
        .value_kind:     by_value
      - .offset:         56
        .size:           4
        .value_kind:     by_value
      - .offset:         64
        .size:           8
        .value_kind:     by_value
    .group_segment_fixed_size: 0
    .kernarg_segment_align: 8
    .kernarg_segment_size: 72
    .language:       OpenCL C
    .language_version:
      - 2
      - 0
    .max_flat_workgroup_size: 1024
    .name:           _ZL12ssm_conv_f32ILb0ELm128ELm5EEvPKfS1_S1_iiiiPfiiil
    .private_segment_fixed_size: 0
    .sgpr_count:     61
    .sgpr_spill_count: 0
    .symbol:         _ZL12ssm_conv_f32ILb0ELm128ELm5EEvPKfS1_S1_iiiiPfiiil.kd
    .uniform_work_group_size: 1
    .uses_dynamic_stack: false
    .vgpr_count:     26
    .vgpr_spill_count: 0
    .wavefront_size: 32
    .workgroup_processor_mode: 1
  - .args:
      - .actual_access:  read_only
        .address_space:  global
        .offset:         0
        .size:           8
        .value_kind:     global_buffer
      - .actual_access:  read_only
        .address_space:  global
        .offset:         8
        .size:           8
        .value_kind:     global_buffer
      - .actual_access:  read_only
        .address_space:  global
        .offset:         16
        .size:           8
        .value_kind:     global_buffer
      - .offset:         24
        .size:           4
        .value_kind:     by_value
      - .offset:         28
        .size:           4
        .value_kind:     by_value
      - .offset:         32
        .size:           4
        .value_kind:     by_value
      - .offset:         36
        .size:           4
        .value_kind:     by_value
      - .actual_access:  write_only
        .address_space:  global
        .offset:         40
        .size:           8
        .value_kind:     global_buffer
      - .offset:         48
        .size:           4
        .value_kind:     by_value
      - .offset:         52
        .size:           4
        .value_kind:     by_value
      - .offset:         56
        .size:           4
        .value_kind:     by_value
      - .offset:         64
        .size:           8
        .value_kind:     by_value
    .group_segment_fixed_size: 0
    .kernarg_segment_align: 8
    .kernarg_segment_size: 72
    .language:       OpenCL C
    .language_version:
      - 2
      - 0
    .max_flat_workgroup_size: 1024
    .name:           _ZL23ssm_conv_long_token_f32ILb0ELm128ELm5ELl32EEvPKfS1_S1_iiiiPfiiil
    .private_segment_fixed_size: 0
    .sgpr_count:     21
    .sgpr_spill_count: 0
    .symbol:         _ZL23ssm_conv_long_token_f32ILb0ELm128ELm5ELl32EEvPKfS1_S1_iiiiPfiiil.kd
    .uniform_work_group_size: 1
    .uses_dynamic_stack: false
    .vgpr_count:     74
    .vgpr_spill_count: 0
    .wavefront_size: 32
    .workgroup_processor_mode: 1
  - .args:
      - .address_space:  global
        .offset:         0
        .size:           8
        .value_kind:     global_buffer
      - .address_space:  global
        .offset:         8
        .size:           8
        .value_kind:     global_buffer
      - .address_space:  global
        .offset:         16
        .size:           8
        .value_kind:     global_buffer
      - .offset:         24
        .size:           4
        .value_kind:     by_value
      - .offset:         28
        .size:           4
        .value_kind:     by_value
      - .offset:         32
        .size:           4
        .value_kind:     by_value
      - .offset:         36
        .size:           4
        .value_kind:     by_value
      - .address_space:  global
        .offset:         40
        .size:           8
        .value_kind:     global_buffer
      - .offset:         48
        .size:           4
        .value_kind:     by_value
      - .offset:         52
        .size:           4
        .value_kind:     by_value
      - .offset:         56
        .size:           4
        .value_kind:     by_value
      - .offset:         64
        .size:           8
        .value_kind:     by_value
    .group_segment_fixed_size: 0
    .kernarg_segment_align: 8
    .kernarg_segment_size: 72
    .language:       OpenCL C
    .language_version:
      - 2
      - 0
    .max_flat_workgroup_size: 1024
    .name:           _ZL12ssm_conv_f32ILb0ELm128ELm9EEvPKfS1_S1_iiiiPfiiil
    .private_segment_fixed_size: 0
    .sgpr_count:     97
    .sgpr_spill_count: 0
    .symbol:         _ZL12ssm_conv_f32ILb0ELm128ELm9EEvPKfS1_S1_iiiiPfiiil.kd
    .uniform_work_group_size: 1
    .uses_dynamic_stack: false
    .vgpr_count:     30
    .vgpr_spill_count: 0
    .wavefront_size: 32
    .workgroup_processor_mode: 1
  - .args:
      - .actual_access:  read_only
        .address_space:  global
        .offset:         0
        .size:           8
        .value_kind:     global_buffer
      - .actual_access:  read_only
        .address_space:  global
        .offset:         8
        .size:           8
        .value_kind:     global_buffer
      - .actual_access:  read_only
        .address_space:  global
        .offset:         16
        .size:           8
        .value_kind:     global_buffer
      - .offset:         24
        .size:           4
        .value_kind:     by_value
      - .offset:         28
        .size:           4
        .value_kind:     by_value
      - .offset:         32
        .size:           4
        .value_kind:     by_value
      - .offset:         36
        .size:           4
        .value_kind:     by_value
      - .actual_access:  write_only
        .address_space:  global
        .offset:         40
        .size:           8
        .value_kind:     global_buffer
      - .offset:         48
        .size:           4
        .value_kind:     by_value
      - .offset:         52
        .size:           4
        .value_kind:     by_value
      - .offset:         56
        .size:           4
        .value_kind:     by_value
      - .offset:         64
        .size:           8
        .value_kind:     by_value
    .group_segment_fixed_size: 0
    .kernarg_segment_align: 8
    .kernarg_segment_size: 72
    .language:       OpenCL C
    .language_version:
      - 2
      - 0
    .max_flat_workgroup_size: 1024
    .name:           _ZL23ssm_conv_long_token_f32ILb0ELm128ELm9ELl32EEvPKfS1_S1_iiiiPfiiil
    .private_segment_fixed_size: 0
    .sgpr_count:     21
    .sgpr_spill_count: 0
    .symbol:         _ZL23ssm_conv_long_token_f32ILb0ELm128ELm9ELl32EEvPKfS1_S1_iiiiPfiiil.kd
    .uniform_work_group_size: 1
    .uses_dynamic_stack: false
    .vgpr_count:     92
    .vgpr_spill_count: 0
    .wavefront_size: 32
    .workgroup_processor_mode: 1
  - .args:
      - .address_space:  global
        .offset:         0
        .size:           8
        .value_kind:     global_buffer
      - .address_space:  global
        .offset:         8
        .size:           8
        .value_kind:     global_buffer
      - .address_space:  global
        .offset:         16
        .size:           8
        .value_kind:     global_buffer
      - .offset:         24
        .size:           4
        .value_kind:     by_value
      - .offset:         28
        .size:           4
        .value_kind:     by_value
      - .offset:         32
        .size:           4
        .value_kind:     by_value
      - .offset:         36
        .size:           4
        .value_kind:     by_value
      - .address_space:  global
        .offset:         40
        .size:           8
        .value_kind:     global_buffer
      - .offset:         48
        .size:           4
        .value_kind:     by_value
      - .offset:         52
        .size:           4
        .value_kind:     by_value
      - .offset:         56
        .size:           4
        .value_kind:     by_value
      - .offset:         64
        .size:           8
        .value_kind:     by_value
    .group_segment_fixed_size: 0
    .kernarg_segment_align: 8
    .kernarg_segment_size: 72
    .language:       OpenCL C
    .language_version:
      - 2
      - 0
    .max_flat_workgroup_size: 1024
    .name:           _ZL12ssm_conv_f32ILb0ELm128ELm15EEvPKfS1_S1_iiiiPfiiil
    .private_segment_fixed_size: 0
    .sgpr_count:     107
    .sgpr_spill_count: 2
    .symbol:         _ZL12ssm_conv_f32ILb0ELm128ELm15EEvPKfS1_S1_iiiiPfiiil.kd
    .uniform_work_group_size: 1
    .uses_dynamic_stack: false
    .vgpr_count:     47
    .vgpr_spill_count: 0
    .wavefront_size: 32
    .workgroup_processor_mode: 1
  - .args:
      - .actual_access:  read_only
        .address_space:  global
        .offset:         0
        .size:           8
        .value_kind:     global_buffer
      - .actual_access:  read_only
        .address_space:  global
        .offset:         8
        .size:           8
        .value_kind:     global_buffer
      - .actual_access:  read_only
        .address_space:  global
        .offset:         16
        .size:           8
        .value_kind:     global_buffer
      - .offset:         24
        .size:           4
        .value_kind:     by_value
      - .offset:         28
        .size:           4
        .value_kind:     by_value
      - .offset:         32
        .size:           4
        .value_kind:     by_value
      - .offset:         36
        .size:           4
        .value_kind:     by_value
      - .actual_access:  write_only
        .address_space:  global
        .offset:         40
        .size:           8
        .value_kind:     global_buffer
      - .offset:         48
        .size:           4
        .value_kind:     by_value
      - .offset:         52
        .size:           4
        .value_kind:     by_value
      - .offset:         56
        .size:           4
        .value_kind:     by_value
      - .offset:         64
        .size:           8
        .value_kind:     by_value
    .group_segment_fixed_size: 0
    .kernarg_segment_align: 8
    .kernarg_segment_size: 72
    .language:       OpenCL C
    .language_version:
      - 2
      - 0
    .max_flat_workgroup_size: 1024
    .name:           _ZL23ssm_conv_long_token_f32ILb0ELm128ELm15ELl32EEvPKfS1_S1_iiiiPfiiil
    .private_segment_fixed_size: 0
    .sgpr_count:     21
    .sgpr_spill_count: 0
    .symbol:         _ZL23ssm_conv_long_token_f32ILb0ELm128ELm15ELl32EEvPKfS1_S1_iiiiPfiiil.kd
    .uniform_work_group_size: 1
    .uses_dynamic_stack: false
    .vgpr_count:     94
    .vgpr_spill_count: 0
    .wavefront_size: 32
    .workgroup_processor_mode: 1
amdhsa.target:   amdgcn-amd-amdhsa--gfx1100
amdhsa.version:
  - 1
  - 2
...

	.end_amdgpu_metadata
